;; amdgpu-corpus repo=ROCm/rocSPARSE kind=compiled arch=gfx906 opt=O3
	.amdgcn_target "amdgcn-amd-amdhsa--gfx906"
	.amdhsa_code_object_version 6
	.section	.text._ZN9rocsparseL27csrsv_analysis_upper_kernelILj1024ELj64ELb1EiiEEvT3_PKT2_PKS1_PS2_PiS7_PS1_21rocsparse_index_base_20rocsparse_diag_type_,"axG",@progbits,_ZN9rocsparseL27csrsv_analysis_upper_kernelILj1024ELj64ELb1EiiEEvT3_PKT2_PKS1_PS2_PiS7_PS1_21rocsparse_index_base_20rocsparse_diag_type_,comdat
	.globl	_ZN9rocsparseL27csrsv_analysis_upper_kernelILj1024ELj64ELb1EiiEEvT3_PKT2_PKS1_PS2_PiS7_PS1_21rocsparse_index_base_20rocsparse_diag_type_ ; -- Begin function _ZN9rocsparseL27csrsv_analysis_upper_kernelILj1024ELj64ELb1EiiEEvT3_PKT2_PKS1_PS2_PiS7_PS1_21rocsparse_index_base_20rocsparse_diag_type_
	.p2align	8
	.type	_ZN9rocsparseL27csrsv_analysis_upper_kernelILj1024ELj64ELb1EiiEEvT3_PKT2_PKS1_PS2_PiS7_PS1_21rocsparse_index_base_20rocsparse_diag_type_,@function
_ZN9rocsparseL27csrsv_analysis_upper_kernelILj1024ELj64ELb1EiiEEvT3_PKT2_PKS1_PS2_PiS7_PS1_21rocsparse_index_base_20rocsparse_diag_type_: ; @_ZN9rocsparseL27csrsv_analysis_upper_kernelILj1024ELj64ELb1EiiEEvT3_PKT2_PKS1_PS2_PiS7_PS1_21rocsparse_index_base_20rocsparse_diag_type_
; %bb.0:
	s_load_dword s28, s[4:5], 0x0
	s_lshl_b32 s29, s6, 4
	s_not_b32 s0, s29
	v_lshrrev_b32_e32 v2, 6, v0
	v_lshlrev_b32_e32 v8, 2, v2
	s_waitcnt lgkmcnt(0)
	s_add_i32 s30, s28, s0
	v_sub_u32_e32 v1, s30, v2
	v_mov_b32_e32 v2, 0
	v_cmp_lt_i32_e32 vcc, -1, v1
	ds_write_b32 v8, v2
	s_waitcnt lgkmcnt(0)
	s_barrier
	s_and_saveexec_b64 s[0:1], vcc
	s_cbranch_execz .LBB0_37
; %bb.1:
	s_load_dwordx2 s[0:1], s[4:5], 0x8
	s_load_dwordx4 s[8:11], s[4:5], 0x18
	v_and_b32_e32 v0, 63, v0
	v_lshlrev_b64 v[2:3], 2, v[1:2]
	v_cmp_eq_u32_e32 vcc, 0, v0
	s_and_saveexec_b64 s[2:3], vcc
	s_cbranch_execz .LBB0_3
; %bb.2:
	s_waitcnt lgkmcnt(0)
	v_mov_b32_e32 v5, s9
	v_add_co_u32_e32 v4, vcc, s8, v2
	v_addc_co_u32_e32 v5, vcc, v5, v3, vcc
	v_mov_b32_e32 v6, -1
	global_store_dword v[4:5], v6, off
.LBB0_3:
	s_or_b64 exec, exec, s[2:3]
	s_waitcnt lgkmcnt(0)
	v_mov_b32_e32 v5, s1
	v_add_co_u32_e32 v4, vcc, s0, v2
	v_addc_co_u32_e32 v5, vcc, v5, v3, vcc
	global_load_dwordx2 v[4:5], v[4:5], off
	s_load_dwordx2 s[6:7], s[4:5], 0x38
	s_load_dwordx4 s[0:3], s[4:5], 0x28
	v_mov_b32_e32 v6, 0
	s_waitcnt vmcnt(0) lgkmcnt(0)
	v_subrev_u32_e32 v10, s6, v5
	v_subrev_u32_e32 v9, s6, v4
	v_xad_u32 v7, v0, -1, v10
	v_cmp_ge_i32_e32 vcc, v7, v9
	s_and_saveexec_b64 s[12:13], vcc
	s_cbranch_execz .LBB0_27
; %bb.4:
	s_load_dwordx2 s[4:5], s[4:5], 0x10
	v_mov_b32_e32 v6, 0
	s_mov_b64 s[14:15], 0
                                        ; implicit-def: $sgpr16_sgpr17
                                        ; implicit-def: $sgpr20_sgpr21
                                        ; implicit-def: $sgpr18_sgpr19
	s_waitcnt lgkmcnt(0)
	v_mov_b32_e32 v12, s5
	s_branch .LBB0_8
.LBB0_5:                                ;   in Loop: Header=BB0_8 Depth=1
	s_or_b64 exec, exec, s[26:27]
.LBB0_6:                                ;   in Loop: Header=BB0_8 Depth=1
	s_or_b64 exec, exec, s[24:25]
	v_subrev_u32_e32 v7, 64, v4
	v_cmp_lt_i32_e32 vcc, v7, v9
	s_andn2_b64 s[20:21], s[20:21], exec
	s_and_b64 s[24:25], vcc, exec
	v_max_i32_e32 v6, v13, v11
	s_andn2_b64 s[18:19], s[18:19], exec
	s_or_b64 s[20:21], s[20:21], s[24:25]
.LBB0_7:                                ;   in Loop: Header=BB0_8 Depth=1
	s_or_b64 exec, exec, s[22:23]
	s_and_b64 s[22:23], exec, s[20:21]
	s_or_b64 s[14:15], s[22:23], s[14:15]
	s_andn2_b64 s[16:17], s[16:17], exec
	s_and_b64 s[22:23], s[18:19], exec
	s_or_b64 s[16:17], s[16:17], s[22:23]
	s_andn2_b64 exec, exec, s[14:15]
	s_cbranch_execz .LBB0_14
.LBB0_8:                                ; =>This Loop Header: Depth=1
                                        ;     Child Loop BB0_12 Depth 2
                                        ;       Child Loop BB0_13 Depth 3
	v_mov_b32_e32 v4, v7
	v_ashrrev_i32_e32 v5, 31, v4
	v_lshlrev_b64 v[13:14], 2, v[4:5]
	v_mov_b32_e32 v11, v6
	v_add_co_u32_e32 v13, vcc, s4, v13
	v_addc_co_u32_e32 v14, vcc, v12, v14, vcc
	global_load_dword v5, v[13:14], off glc slc
	s_or_b64 s[18:19], s[18:19], exec
	s_or_b64 s[20:21], s[20:21], exec
                                        ; implicit-def: $vgpr7
                                        ; implicit-def: $vgpr6
	s_waitcnt vmcnt(0)
	v_subrev_u32_e32 v5, s6, v5
	v_cmp_lt_i32_e32 vcc, s30, v5
	s_and_saveexec_b64 s[22:23], vcc
	s_cbranch_execz .LBB0_7
; %bb.9:                                ;   in Loop: Header=BB0_8 Depth=1
	v_ashrrev_i32_e32 v6, 31, v5
	v_lshlrev_b64 v[6:7], 2, v[5:6]
	v_mov_b32_e32 v13, s11
	v_add_co_u32_e32 v6, vcc, s10, v6
	v_addc_co_u32_e32 v7, vcc, v13, v7, vcc
	global_load_dword v13, v[6:7], off glc
	s_waitcnt vmcnt(0)
	v_cmp_eq_u32_e32 vcc, 0, v13
	s_and_saveexec_b64 s[24:25], vcc
	s_cbranch_execz .LBB0_6
; %bb.10:                               ;   in Loop: Header=BB0_8 Depth=1
	s_mov_b32 s5, 0
	s_mov_b64 s[26:27], 0
	s_branch .LBB0_12
.LBB0_11:                               ;   in Loop: Header=BB0_12 Depth=2
	global_load_dword v13, v[6:7], off glc
	s_cmpk_lt_u32 s5, 0xf43
	s_cselect_b64 s[34:35], -1, 0
	s_cmp_lg_u64 s[34:35], 0
	s_addc_u32 s5, s5, 0
	s_waitcnt vmcnt(0)
	v_cmp_ne_u32_e32 vcc, 0, v13
	s_or_b64 s[26:27], vcc, s[26:27]
	s_andn2_b64 exec, exec, s[26:27]
	s_cbranch_execz .LBB0_5
.LBB0_12:                               ;   Parent Loop BB0_8 Depth=1
                                        ; =>  This Loop Header: Depth=2
                                        ;       Child Loop BB0_13 Depth 3
	s_cmp_eq_u32 s5, 0
	s_mov_b32 s31, s5
	s_cbranch_scc1 .LBB0_11
.LBB0_13:                               ;   Parent Loop BB0_8 Depth=1
                                        ;     Parent Loop BB0_12 Depth=2
                                        ; =>    This Inner Loop Header: Depth=3
	s_add_i32 s31, s31, -1
	s_cmp_eq_u32 s31, 0
	s_sleep 1
	s_cbranch_scc0 .LBB0_13
	s_branch .LBB0_11
.LBB0_14:
	s_or_b64 exec, exec, s[14:15]
	s_and_saveexec_b64 s[4:5], s[16:17]
	s_xor_b64 s[4:5], exec, s[4:5]
	s_cbranch_execz .LBB0_26
; %bb.15:
	v_cmp_eq_u32_e32 vcc, v5, v1
	s_and_saveexec_b64 s[14:15], vcc
	s_cbranch_execz .LBB0_17
; %bb.16:
	v_mov_b32_e32 v7, s9
	v_add_co_u32_e32 v6, vcc, s8, v2
	v_addc_co_u32_e32 v7, vcc, v7, v3, vcc
	global_store_dword v[6:7], v4, off
.LBB0_17:
	s_or_b64 exec, exec, s[14:15]
	v_cmp_gt_i32_e32 vcc, v5, v1
	s_and_saveexec_b64 s[14:15], vcc
	s_cbranch_execz .LBB0_25
; %bb.18:
	s_xor_b32 s16, s29, 0x3ffffff0
	s_add_i32 s28, s28, s16
	v_sub_u32_e32 v4, s28, v5
	v_lshlrev_b32_e32 v4, 2, v4
	ds_read_b32 v5, v4 offset:60
	s_mov_b32 s20, 0
	s_waitcnt lgkmcnt(0)
	v_cmp_eq_u32_e32 vcc, 0, v5
	s_and_saveexec_b64 s[16:17], vcc
	s_cbranch_execz .LBB0_24
; %bb.19:
	s_mov_b64 s[18:19], 0
	s_branch .LBB0_21
.LBB0_20:                               ;   in Loop: Header=BB0_21 Depth=1
	ds_read_b32 v5, v4 offset:60
	s_cmpk_lt_u32 s20, 0xf43
	s_cselect_b64 s[22:23], -1, 0
	s_cmp_lg_u64 s[22:23], 0
	s_addc_u32 s20, s20, 0
	s_waitcnt lgkmcnt(0)
	v_cmp_ne_u32_e32 vcc, 0, v5
	s_or_b64 s[18:19], vcc, s[18:19]
	s_andn2_b64 exec, exec, s[18:19]
	s_cbranch_execz .LBB0_23
.LBB0_21:                               ; =>This Loop Header: Depth=1
                                        ;     Child Loop BB0_22 Depth 2
	s_cmp_eq_u32 s20, 0
	s_mov_b32 s21, s20
	s_cbranch_scc1 .LBB0_20
.LBB0_22:                               ;   Parent Loop BB0_21 Depth=1
                                        ; =>  This Inner Loop Header: Depth=2
	s_add_i32 s21, s21, -1
	s_cmp_eq_u32 s21, 0
	s_sleep 1
	s_cbranch_scc0 .LBB0_22
	s_branch .LBB0_20
.LBB0_23:
	s_or_b64 exec, exec, s[18:19]
.LBB0_24:
	s_or_b64 exec, exec, s[16:17]
	v_max_i32_e32 v11, v5, v11
.LBB0_25:
	s_or_b64 exec, exec, s[14:15]
	v_mov_b32_e32 v6, v11
.LBB0_26:
	s_or_b64 exec, exec, s[4:5]
.LBB0_27:
	s_or_b64 exec, exec, s[12:13]
	v_mov_b32_dpp v4, v6 row_shr:1 row_mask:0xf bank_mask:0xf
	v_max_i32_e32 v4, v6, v4
	v_cmp_eq_u32_e32 vcc, 63, v0
	s_nop 0
	v_mov_b32_dpp v5, v4 row_shr:2 row_mask:0xf bank_mask:0xf
	v_max_i32_e32 v4, v4, v5
	s_nop 1
	v_mov_b32_dpp v5, v4 row_shr:4 row_mask:0xf bank_mask:0xe
	v_max_i32_e32 v4, v4, v5
	;; [unrolled: 3-line block ×3, first 2 shown]
	s_nop 1
	v_mov_b32_dpp v5, v4 row_bcast:15 row_mask:0xa bank_mask:0xf
	v_max_i32_e32 v4, v4, v5
	s_nop 1
	v_mov_b32_dpp v5, v4 row_bcast:31 row_mask:0xc bank_mask:0xf
	s_and_b64 exec, exec, vcc
	s_cbranch_execz .LBB0_37
; %bb.28:
	v_max_i32_e32 v0, v4, v5
	v_mov_b32_e32 v5, s11
	v_add_co_u32_e32 v4, vcc, s10, v2
	v_add_u32_e32 v0, 1, v0
	v_addc_co_u32_e32 v5, vcc, v5, v3, vcc
	s_mov_b64 s[4:5], exec
	ds_write_b32 v8, v0
	global_store_dword v[4:5], v0, off
	v_sub_u32_e32 v0, v10, v9
	s_brev_b32 s10, 1
.LBB0_29:                               ; =>This Inner Loop Header: Depth=1
	s_ff1_i32_b64 s11, s[4:5]
	v_readlane_b32 s14, v0, s11
	s_lshl_b64 s[12:13], 1, s11
	s_max_i32 s10, s10, s14
	s_andn2_b64 s[4:5], s[4:5], s[12:13]
	s_cmp_lg_u64 s[4:5], 0
	s_cbranch_scc1 .LBB0_29
; %bb.30:
	v_mbcnt_lo_u32_b32 v0, exec_lo, 0
	v_mbcnt_hi_u32_b32 v0, exec_hi, v0
	v_cmp_eq_u32_e32 vcc, 0, v0
	s_and_saveexec_b64 s[4:5], vcc
	s_xor_b64 s[4:5], exec, s[4:5]
	s_cbranch_execz .LBB0_32
; %bb.31:
	v_mov_b32_e32 v0, 0
	v_mov_b32_e32 v4, s10
	global_atomic_smax v0, v4, s[0:1]
.LBB0_32:
	s_or_b64 exec, exec, s[4:5]
	v_mov_b32_e32 v0, s9
	v_add_co_u32_e32 v2, vcc, s8, v2
	v_addc_co_u32_e32 v3, vcc, v0, v3, vcc
	global_load_dword v0, v[2:3], off
	s_cmp_eq_u32 s7, 0
	s_cselect_b64 s[0:1], -1, 0
	s_waitcnt vmcnt(0)
	v_cmp_eq_u32_e32 vcc, -1, v0
	s_and_b64 s[0:1], s[0:1], vcc
	s_and_b64 exec, exec, s[0:1]
	s_cbranch_execz .LBB0_37
; %bb.33:
	s_mov_b64 s[0:1], exec
	v_add_u32_e32 v0, s6, v1
	s_brev_b32 s4, -2
.LBB0_34:                               ; =>This Inner Loop Header: Depth=1
	s_ff1_i32_b64 s5, s[0:1]
	v_readlane_b32 s8, v0, s5
	s_lshl_b64 s[6:7], 1, s5
	s_min_i32 s4, s4, s8
	s_andn2_b64 s[0:1], s[0:1], s[6:7]
	s_cmp_lg_u64 s[0:1], 0
	s_cbranch_scc1 .LBB0_34
; %bb.35:
	v_mbcnt_lo_u32_b32 v0, exec_lo, 0
	v_mbcnt_hi_u32_b32 v0, exec_hi, v0
	v_cmp_eq_u32_e32 vcc, 0, v0
	s_and_saveexec_b64 s[0:1], vcc
	s_xor_b64 s[0:1], exec, s[0:1]
	s_cbranch_execz .LBB0_37
; %bb.36:
	v_mov_b32_e32 v0, 0
	v_mov_b32_e32 v1, s4
	global_atomic_smin v0, v1, s[2:3]
.LBB0_37:
	s_endpgm
	.section	.rodata,"a",@progbits
	.p2align	6, 0x0
	.amdhsa_kernel _ZN9rocsparseL27csrsv_analysis_upper_kernelILj1024ELj64ELb1EiiEEvT3_PKT2_PKS1_PS2_PiS7_PS1_21rocsparse_index_base_20rocsparse_diag_type_
		.amdhsa_group_segment_fixed_size 64
		.amdhsa_private_segment_fixed_size 0
		.amdhsa_kernarg_size 64
		.amdhsa_user_sgpr_count 6
		.amdhsa_user_sgpr_private_segment_buffer 1
		.amdhsa_user_sgpr_dispatch_ptr 0
		.amdhsa_user_sgpr_queue_ptr 0
		.amdhsa_user_sgpr_kernarg_segment_ptr 1
		.amdhsa_user_sgpr_dispatch_id 0
		.amdhsa_user_sgpr_flat_scratch_init 0
		.amdhsa_user_sgpr_private_segment_size 0
		.amdhsa_uses_dynamic_stack 0
		.amdhsa_system_sgpr_private_segment_wavefront_offset 0
		.amdhsa_system_sgpr_workgroup_id_x 1
		.amdhsa_system_sgpr_workgroup_id_y 0
		.amdhsa_system_sgpr_workgroup_id_z 0
		.amdhsa_system_sgpr_workgroup_info 0
		.amdhsa_system_vgpr_workitem_id 0
		.amdhsa_next_free_vgpr 15
		.amdhsa_next_free_sgpr 36
		.amdhsa_reserve_vcc 1
		.amdhsa_reserve_flat_scratch 0
		.amdhsa_float_round_mode_32 0
		.amdhsa_float_round_mode_16_64 0
		.amdhsa_float_denorm_mode_32 3
		.amdhsa_float_denorm_mode_16_64 3
		.amdhsa_dx10_clamp 1
		.amdhsa_ieee_mode 1
		.amdhsa_fp16_overflow 0
		.amdhsa_exception_fp_ieee_invalid_op 0
		.amdhsa_exception_fp_denorm_src 0
		.amdhsa_exception_fp_ieee_div_zero 0
		.amdhsa_exception_fp_ieee_overflow 0
		.amdhsa_exception_fp_ieee_underflow 0
		.amdhsa_exception_fp_ieee_inexact 0
		.amdhsa_exception_int_div_zero 0
	.end_amdhsa_kernel
	.section	.text._ZN9rocsparseL27csrsv_analysis_upper_kernelILj1024ELj64ELb1EiiEEvT3_PKT2_PKS1_PS2_PiS7_PS1_21rocsparse_index_base_20rocsparse_diag_type_,"axG",@progbits,_ZN9rocsparseL27csrsv_analysis_upper_kernelILj1024ELj64ELb1EiiEEvT3_PKT2_PKS1_PS2_PiS7_PS1_21rocsparse_index_base_20rocsparse_diag_type_,comdat
.Lfunc_end0:
	.size	_ZN9rocsparseL27csrsv_analysis_upper_kernelILj1024ELj64ELb1EiiEEvT3_PKT2_PKS1_PS2_PiS7_PS1_21rocsparse_index_base_20rocsparse_diag_type_, .Lfunc_end0-_ZN9rocsparseL27csrsv_analysis_upper_kernelILj1024ELj64ELb1EiiEEvT3_PKT2_PKS1_PS2_PiS7_PS1_21rocsparse_index_base_20rocsparse_diag_type_
                                        ; -- End function
	.set _ZN9rocsparseL27csrsv_analysis_upper_kernelILj1024ELj64ELb1EiiEEvT3_PKT2_PKS1_PS2_PiS7_PS1_21rocsparse_index_base_20rocsparse_diag_type_.num_vgpr, 15
	.set _ZN9rocsparseL27csrsv_analysis_upper_kernelILj1024ELj64ELb1EiiEEvT3_PKT2_PKS1_PS2_PiS7_PS1_21rocsparse_index_base_20rocsparse_diag_type_.num_agpr, 0
	.set _ZN9rocsparseL27csrsv_analysis_upper_kernelILj1024ELj64ELb1EiiEEvT3_PKT2_PKS1_PS2_PiS7_PS1_21rocsparse_index_base_20rocsparse_diag_type_.numbered_sgpr, 36
	.set _ZN9rocsparseL27csrsv_analysis_upper_kernelILj1024ELj64ELb1EiiEEvT3_PKT2_PKS1_PS2_PiS7_PS1_21rocsparse_index_base_20rocsparse_diag_type_.num_named_barrier, 0
	.set _ZN9rocsparseL27csrsv_analysis_upper_kernelILj1024ELj64ELb1EiiEEvT3_PKT2_PKS1_PS2_PiS7_PS1_21rocsparse_index_base_20rocsparse_diag_type_.private_seg_size, 0
	.set _ZN9rocsparseL27csrsv_analysis_upper_kernelILj1024ELj64ELb1EiiEEvT3_PKT2_PKS1_PS2_PiS7_PS1_21rocsparse_index_base_20rocsparse_diag_type_.uses_vcc, 1
	.set _ZN9rocsparseL27csrsv_analysis_upper_kernelILj1024ELj64ELb1EiiEEvT3_PKT2_PKS1_PS2_PiS7_PS1_21rocsparse_index_base_20rocsparse_diag_type_.uses_flat_scratch, 0
	.set _ZN9rocsparseL27csrsv_analysis_upper_kernelILj1024ELj64ELb1EiiEEvT3_PKT2_PKS1_PS2_PiS7_PS1_21rocsparse_index_base_20rocsparse_diag_type_.has_dyn_sized_stack, 0
	.set _ZN9rocsparseL27csrsv_analysis_upper_kernelILj1024ELj64ELb1EiiEEvT3_PKT2_PKS1_PS2_PiS7_PS1_21rocsparse_index_base_20rocsparse_diag_type_.has_recursion, 0
	.set _ZN9rocsparseL27csrsv_analysis_upper_kernelILj1024ELj64ELb1EiiEEvT3_PKT2_PKS1_PS2_PiS7_PS1_21rocsparse_index_base_20rocsparse_diag_type_.has_indirect_call, 0
	.section	.AMDGPU.csdata,"",@progbits
; Kernel info:
; codeLenInByte = 1112
; TotalNumSgprs: 40
; NumVgprs: 15
; ScratchSize: 0
; MemoryBound: 0
; FloatMode: 240
; IeeeMode: 1
; LDSByteSize: 64 bytes/workgroup (compile time only)
; SGPRBlocks: 4
; VGPRBlocks: 3
; NumSGPRsForWavesPerEU: 40
; NumVGPRsForWavesPerEU: 15
; Occupancy: 10
; WaveLimiterHint : 1
; COMPUTE_PGM_RSRC2:SCRATCH_EN: 0
; COMPUTE_PGM_RSRC2:USER_SGPR: 6
; COMPUTE_PGM_RSRC2:TRAP_HANDLER: 0
; COMPUTE_PGM_RSRC2:TGID_X_EN: 1
; COMPUTE_PGM_RSRC2:TGID_Y_EN: 0
; COMPUTE_PGM_RSRC2:TGID_Z_EN: 0
; COMPUTE_PGM_RSRC2:TIDIG_COMP_CNT: 0
	.section	.text._ZN9rocsparseL27csrsv_analysis_lower_kernelILj1024ELj64ELb1EiiEEvT3_PKT2_PKS1_PS2_PiS7_PS1_21rocsparse_index_base_20rocsparse_diag_type_,"axG",@progbits,_ZN9rocsparseL27csrsv_analysis_lower_kernelILj1024ELj64ELb1EiiEEvT3_PKT2_PKS1_PS2_PiS7_PS1_21rocsparse_index_base_20rocsparse_diag_type_,comdat
	.globl	_ZN9rocsparseL27csrsv_analysis_lower_kernelILj1024ELj64ELb1EiiEEvT3_PKT2_PKS1_PS2_PiS7_PS1_21rocsparse_index_base_20rocsparse_diag_type_ ; -- Begin function _ZN9rocsparseL27csrsv_analysis_lower_kernelILj1024ELj64ELb1EiiEEvT3_PKT2_PKS1_PS2_PiS7_PS1_21rocsparse_index_base_20rocsparse_diag_type_
	.p2align	8
	.type	_ZN9rocsparseL27csrsv_analysis_lower_kernelILj1024ELj64ELb1EiiEEvT3_PKT2_PKS1_PS2_PiS7_PS1_21rocsparse_index_base_20rocsparse_diag_type_,@function
_ZN9rocsparseL27csrsv_analysis_lower_kernelILj1024ELj64ELb1EiiEEvT3_PKT2_PKS1_PS2_PiS7_PS1_21rocsparse_index_base_20rocsparse_diag_type_: ; @_ZN9rocsparseL27csrsv_analysis_lower_kernelILj1024ELj64ELb1EiiEEvT3_PKT2_PKS1_PS2_PiS7_PS1_21rocsparse_index_base_20rocsparse_diag_type_
; %bb.0:
	s_load_dword s0, s[4:5], 0x0
	v_lshrrev_b32_e32 v2, 6, v0
	s_lshl_b32 s28, s6, 4
	v_or_b32_e32 v1, s28, v2
	v_lshlrev_b32_e32 v8, 2, v2
	v_mov_b32_e32 v2, 0
	s_waitcnt lgkmcnt(0)
	v_cmp_gt_i32_e32 vcc, s0, v1
	ds_write_b32 v8, v2
	s_waitcnt lgkmcnt(0)
	s_barrier
	s_and_saveexec_b64 s[0:1], vcc
	s_cbranch_execz .LBB1_37
; %bb.1:
	s_load_dwordx2 s[0:1], s[4:5], 0x8
	s_load_dwordx4 s[8:11], s[4:5], 0x18
	v_ashrrev_i32_e32 v2, 31, v1
	v_and_b32_e32 v0, 63, v0
	v_lshlrev_b64 v[2:3], 2, v[1:2]
	v_cmp_eq_u32_e32 vcc, 0, v0
	s_and_saveexec_b64 s[2:3], vcc
	s_cbranch_execz .LBB1_3
; %bb.2:
	s_waitcnt lgkmcnt(0)
	v_mov_b32_e32 v5, s9
	v_add_co_u32_e32 v4, vcc, s8, v2
	v_addc_co_u32_e32 v5, vcc, v5, v3, vcc
	v_mov_b32_e32 v6, -1
	global_store_dword v[4:5], v6, off
.LBB1_3:
	s_or_b64 exec, exec, s[2:3]
	s_waitcnt lgkmcnt(0)
	v_mov_b32_e32 v5, s1
	v_add_co_u32_e32 v4, vcc, s0, v2
	v_addc_co_u32_e32 v5, vcc, v5, v3, vcc
	global_load_dwordx2 v[4:5], v[4:5], off
	s_load_dwordx2 s[6:7], s[4:5], 0x38
	s_load_dwordx4 s[0:3], s[4:5], 0x28
	v_mov_b32_e32 v6, 0
	s_waitcnt vmcnt(0) lgkmcnt(0)
	v_subrev_u32_e32 v9, s6, v4
	v_subrev_u32_e32 v10, s6, v5
	v_add_u32_e32 v7, v9, v0
	v_cmp_lt_i32_e32 vcc, v7, v10
	s_and_saveexec_b64 s[12:13], vcc
	s_cbranch_execz .LBB1_27
; %bb.4:
	s_load_dwordx2 s[4:5], s[4:5], 0x10
	v_mov_b32_e32 v6, 0
	s_mov_b64 s[14:15], 0
                                        ; implicit-def: $sgpr16_sgpr17
                                        ; implicit-def: $sgpr20_sgpr21
                                        ; implicit-def: $sgpr18_sgpr19
	s_waitcnt lgkmcnt(0)
	v_mov_b32_e32 v12, s5
	s_branch .LBB1_8
.LBB1_5:                                ;   in Loop: Header=BB1_8 Depth=1
	s_or_b64 exec, exec, s[26:27]
.LBB1_6:                                ;   in Loop: Header=BB1_8 Depth=1
	s_or_b64 exec, exec, s[24:25]
	v_add_u32_e32 v7, 64, v4
	v_cmp_ge_i32_e32 vcc, v7, v10
	s_andn2_b64 s[20:21], s[20:21], exec
	s_and_b64 s[24:25], vcc, exec
	v_max_i32_e32 v6, v13, v11
	s_andn2_b64 s[18:19], s[18:19], exec
	s_or_b64 s[20:21], s[20:21], s[24:25]
.LBB1_7:                                ;   in Loop: Header=BB1_8 Depth=1
	s_or_b64 exec, exec, s[22:23]
	s_and_b64 s[22:23], exec, s[20:21]
	s_or_b64 s[14:15], s[22:23], s[14:15]
	s_andn2_b64 s[16:17], s[16:17], exec
	s_and_b64 s[22:23], s[18:19], exec
	s_or_b64 s[16:17], s[16:17], s[22:23]
	s_andn2_b64 exec, exec, s[14:15]
	s_cbranch_execz .LBB1_14
.LBB1_8:                                ; =>This Loop Header: Depth=1
                                        ;     Child Loop BB1_12 Depth 2
                                        ;       Child Loop BB1_13 Depth 3
	v_mov_b32_e32 v4, v7
	v_ashrrev_i32_e32 v5, 31, v4
	v_lshlrev_b64 v[13:14], 2, v[4:5]
	v_mov_b32_e32 v11, v6
	v_add_co_u32_e32 v13, vcc, s4, v13
	v_addc_co_u32_e32 v14, vcc, v12, v14, vcc
	global_load_dword v5, v[13:14], off glc slc
	s_or_b64 s[18:19], s[18:19], exec
	s_or_b64 s[20:21], s[20:21], exec
                                        ; implicit-def: $vgpr7
                                        ; implicit-def: $vgpr6
	s_waitcnt vmcnt(0)
	v_subrev_u32_e32 v5, s6, v5
	v_cmp_gt_i32_e32 vcc, s28, v5
	s_and_saveexec_b64 s[22:23], vcc
	s_cbranch_execz .LBB1_7
; %bb.9:                                ;   in Loop: Header=BB1_8 Depth=1
	v_ashrrev_i32_e32 v6, 31, v5
	v_lshlrev_b64 v[6:7], 2, v[5:6]
	v_mov_b32_e32 v13, s11
	v_add_co_u32_e32 v6, vcc, s10, v6
	v_addc_co_u32_e32 v7, vcc, v13, v7, vcc
	global_load_dword v13, v[6:7], off glc
	s_waitcnt vmcnt(0)
	v_cmp_eq_u32_e32 vcc, 0, v13
	s_and_saveexec_b64 s[24:25], vcc
	s_cbranch_execz .LBB1_6
; %bb.10:                               ;   in Loop: Header=BB1_8 Depth=1
	s_mov_b32 s5, 0
	s_mov_b64 s[26:27], 0
	s_branch .LBB1_12
.LBB1_11:                               ;   in Loop: Header=BB1_12 Depth=2
	global_load_dword v13, v[6:7], off glc
	s_cmpk_lt_u32 s5, 0xf43
	s_cselect_b64 s[30:31], -1, 0
	s_cmp_lg_u64 s[30:31], 0
	s_addc_u32 s5, s5, 0
	s_waitcnt vmcnt(0)
	v_cmp_ne_u32_e32 vcc, 0, v13
	s_or_b64 s[26:27], vcc, s[26:27]
	s_andn2_b64 exec, exec, s[26:27]
	s_cbranch_execz .LBB1_5
.LBB1_12:                               ;   Parent Loop BB1_8 Depth=1
                                        ; =>  This Loop Header: Depth=2
                                        ;       Child Loop BB1_13 Depth 3
	s_cmp_eq_u32 s5, 0
	s_mov_b32 s29, s5
	s_cbranch_scc1 .LBB1_11
.LBB1_13:                               ;   Parent Loop BB1_8 Depth=1
                                        ;     Parent Loop BB1_12 Depth=2
                                        ; =>    This Inner Loop Header: Depth=3
	s_add_i32 s29, s29, -1
	s_cmp_eq_u32 s29, 0
	s_sleep 1
	s_cbranch_scc0 .LBB1_13
	s_branch .LBB1_11
.LBB1_14:
	s_or_b64 exec, exec, s[14:15]
	s_and_saveexec_b64 s[4:5], s[16:17]
	s_xor_b64 s[4:5], exec, s[4:5]
	s_cbranch_execz .LBB1_26
; %bb.15:
	v_cmp_eq_u32_e32 vcc, v5, v1
	s_and_saveexec_b64 s[14:15], vcc
	s_cbranch_execz .LBB1_17
; %bb.16:
	v_mov_b32_e32 v7, s9
	v_add_co_u32_e32 v6, vcc, s8, v2
	v_addc_co_u32_e32 v7, vcc, v7, v3, vcc
	global_store_dword v[6:7], v4, off
.LBB1_17:
	s_or_b64 exec, exec, s[14:15]
	v_cmp_lt_i32_e32 vcc, v5, v1
	s_and_saveexec_b64 s[14:15], vcc
	s_cbranch_execz .LBB1_25
; %bb.18:
	v_subrev_u32_e32 v4, s28, v5
	v_lshlrev_b32_e32 v4, 2, v4
	ds_read_b32 v5, v4
	s_mov_b32 s20, 0
	s_waitcnt lgkmcnt(0)
	v_cmp_eq_u32_e32 vcc, 0, v5
	s_and_saveexec_b64 s[16:17], vcc
	s_cbranch_execz .LBB1_24
; %bb.19:
	s_mov_b64 s[18:19], 0
	s_branch .LBB1_21
.LBB1_20:                               ;   in Loop: Header=BB1_21 Depth=1
	ds_read_b32 v5, v4
	s_cmpk_lt_u32 s20, 0xf43
	s_cselect_b64 s[22:23], -1, 0
	s_cmp_lg_u64 s[22:23], 0
	s_addc_u32 s20, s20, 0
	s_waitcnt lgkmcnt(0)
	v_cmp_ne_u32_e32 vcc, 0, v5
	s_or_b64 s[18:19], vcc, s[18:19]
	s_andn2_b64 exec, exec, s[18:19]
	s_cbranch_execz .LBB1_23
.LBB1_21:                               ; =>This Loop Header: Depth=1
                                        ;     Child Loop BB1_22 Depth 2
	s_cmp_eq_u32 s20, 0
	s_mov_b32 s21, s20
	s_cbranch_scc1 .LBB1_20
.LBB1_22:                               ;   Parent Loop BB1_21 Depth=1
                                        ; =>  This Inner Loop Header: Depth=2
	s_add_i32 s21, s21, -1
	s_cmp_eq_u32 s21, 0
	s_sleep 1
	s_cbranch_scc0 .LBB1_22
	s_branch .LBB1_20
.LBB1_23:
	s_or_b64 exec, exec, s[18:19]
.LBB1_24:
	s_or_b64 exec, exec, s[16:17]
	v_max_i32_e32 v11, v5, v11
.LBB1_25:
	s_or_b64 exec, exec, s[14:15]
	v_mov_b32_e32 v6, v11
.LBB1_26:
	s_or_b64 exec, exec, s[4:5]
.LBB1_27:
	s_or_b64 exec, exec, s[12:13]
	v_mov_b32_dpp v4, v6 row_shr:1 row_mask:0xf bank_mask:0xf
	v_max_i32_e32 v4, v6, v4
	v_cmp_eq_u32_e32 vcc, 63, v0
	s_nop 0
	v_mov_b32_dpp v5, v4 row_shr:2 row_mask:0xf bank_mask:0xf
	v_max_i32_e32 v4, v4, v5
	s_nop 1
	v_mov_b32_dpp v5, v4 row_shr:4 row_mask:0xf bank_mask:0xe
	v_max_i32_e32 v4, v4, v5
	;; [unrolled: 3-line block ×3, first 2 shown]
	s_nop 1
	v_mov_b32_dpp v5, v4 row_bcast:15 row_mask:0xa bank_mask:0xf
	v_max_i32_e32 v4, v4, v5
	s_nop 1
	v_mov_b32_dpp v5, v4 row_bcast:31 row_mask:0xc bank_mask:0xf
	s_and_b64 exec, exec, vcc
	s_cbranch_execz .LBB1_37
; %bb.28:
	v_max_i32_e32 v0, v4, v5
	v_mov_b32_e32 v5, s11
	v_add_co_u32_e32 v4, vcc, s10, v2
	v_add_u32_e32 v0, 1, v0
	v_addc_co_u32_e32 v5, vcc, v5, v3, vcc
	s_mov_b64 s[4:5], exec
	ds_write_b32 v8, v0
	global_store_dword v[4:5], v0, off
	v_sub_u32_e32 v0, v10, v9
	s_brev_b32 s10, 1
.LBB1_29:                               ; =>This Inner Loop Header: Depth=1
	s_ff1_i32_b64 s11, s[4:5]
	v_readlane_b32 s14, v0, s11
	s_lshl_b64 s[12:13], 1, s11
	s_max_i32 s10, s10, s14
	s_andn2_b64 s[4:5], s[4:5], s[12:13]
	s_cmp_lg_u64 s[4:5], 0
	s_cbranch_scc1 .LBB1_29
; %bb.30:
	v_mbcnt_lo_u32_b32 v0, exec_lo, 0
	v_mbcnt_hi_u32_b32 v0, exec_hi, v0
	v_cmp_eq_u32_e32 vcc, 0, v0
	s_and_saveexec_b64 s[4:5], vcc
	s_xor_b64 s[4:5], exec, s[4:5]
	s_cbranch_execz .LBB1_32
; %bb.31:
	v_mov_b32_e32 v0, 0
	v_mov_b32_e32 v4, s10
	global_atomic_smax v0, v4, s[0:1]
.LBB1_32:
	s_or_b64 exec, exec, s[4:5]
	v_mov_b32_e32 v0, s9
	v_add_co_u32_e32 v2, vcc, s8, v2
	v_addc_co_u32_e32 v3, vcc, v0, v3, vcc
	global_load_dword v0, v[2:3], off
	s_cmp_eq_u32 s7, 0
	s_cselect_b64 s[0:1], -1, 0
	s_waitcnt vmcnt(0)
	v_cmp_eq_u32_e32 vcc, -1, v0
	s_and_b64 s[0:1], s[0:1], vcc
	s_and_b64 exec, exec, s[0:1]
	s_cbranch_execz .LBB1_37
; %bb.33:
	s_mov_b64 s[0:1], exec
	v_add_u32_e32 v0, s6, v1
	s_brev_b32 s4, -2
.LBB1_34:                               ; =>This Inner Loop Header: Depth=1
	s_ff1_i32_b64 s5, s[0:1]
	v_readlane_b32 s8, v0, s5
	s_lshl_b64 s[6:7], 1, s5
	s_min_i32 s4, s4, s8
	s_andn2_b64 s[0:1], s[0:1], s[6:7]
	s_cmp_lg_u64 s[0:1], 0
	s_cbranch_scc1 .LBB1_34
; %bb.35:
	v_mbcnt_lo_u32_b32 v0, exec_lo, 0
	v_mbcnt_hi_u32_b32 v0, exec_hi, v0
	v_cmp_eq_u32_e32 vcc, 0, v0
	s_and_saveexec_b64 s[0:1], vcc
	s_xor_b64 s[0:1], exec, s[0:1]
	s_cbranch_execz .LBB1_37
; %bb.36:
	v_mov_b32_e32 v0, 0
	v_mov_b32_e32 v1, s4
	global_atomic_smin v0, v1, s[2:3]
.LBB1_37:
	s_endpgm
	.section	.rodata,"a",@progbits
	.p2align	6, 0x0
	.amdhsa_kernel _ZN9rocsparseL27csrsv_analysis_lower_kernelILj1024ELj64ELb1EiiEEvT3_PKT2_PKS1_PS2_PiS7_PS1_21rocsparse_index_base_20rocsparse_diag_type_
		.amdhsa_group_segment_fixed_size 64
		.amdhsa_private_segment_fixed_size 0
		.amdhsa_kernarg_size 64
		.amdhsa_user_sgpr_count 6
		.amdhsa_user_sgpr_private_segment_buffer 1
		.amdhsa_user_sgpr_dispatch_ptr 0
		.amdhsa_user_sgpr_queue_ptr 0
		.amdhsa_user_sgpr_kernarg_segment_ptr 1
		.amdhsa_user_sgpr_dispatch_id 0
		.amdhsa_user_sgpr_flat_scratch_init 0
		.amdhsa_user_sgpr_private_segment_size 0
		.amdhsa_uses_dynamic_stack 0
		.amdhsa_system_sgpr_private_segment_wavefront_offset 0
		.amdhsa_system_sgpr_workgroup_id_x 1
		.amdhsa_system_sgpr_workgroup_id_y 0
		.amdhsa_system_sgpr_workgroup_id_z 0
		.amdhsa_system_sgpr_workgroup_info 0
		.amdhsa_system_vgpr_workitem_id 0
		.amdhsa_next_free_vgpr 15
		.amdhsa_next_free_sgpr 32
		.amdhsa_reserve_vcc 1
		.amdhsa_reserve_flat_scratch 0
		.amdhsa_float_round_mode_32 0
		.amdhsa_float_round_mode_16_64 0
		.amdhsa_float_denorm_mode_32 3
		.amdhsa_float_denorm_mode_16_64 3
		.amdhsa_dx10_clamp 1
		.amdhsa_ieee_mode 1
		.amdhsa_fp16_overflow 0
		.amdhsa_exception_fp_ieee_invalid_op 0
		.amdhsa_exception_fp_denorm_src 0
		.amdhsa_exception_fp_ieee_div_zero 0
		.amdhsa_exception_fp_ieee_overflow 0
		.amdhsa_exception_fp_ieee_underflow 0
		.amdhsa_exception_fp_ieee_inexact 0
		.amdhsa_exception_int_div_zero 0
	.end_amdhsa_kernel
	.section	.text._ZN9rocsparseL27csrsv_analysis_lower_kernelILj1024ELj64ELb1EiiEEvT3_PKT2_PKS1_PS2_PiS7_PS1_21rocsparse_index_base_20rocsparse_diag_type_,"axG",@progbits,_ZN9rocsparseL27csrsv_analysis_lower_kernelILj1024ELj64ELb1EiiEEvT3_PKT2_PKS1_PS2_PiS7_PS1_21rocsparse_index_base_20rocsparse_diag_type_,comdat
.Lfunc_end1:
	.size	_ZN9rocsparseL27csrsv_analysis_lower_kernelILj1024ELj64ELb1EiiEEvT3_PKT2_PKS1_PS2_PiS7_PS1_21rocsparse_index_base_20rocsparse_diag_type_, .Lfunc_end1-_ZN9rocsparseL27csrsv_analysis_lower_kernelILj1024ELj64ELb1EiiEEvT3_PKT2_PKS1_PS2_PiS7_PS1_21rocsparse_index_base_20rocsparse_diag_type_
                                        ; -- End function
	.set _ZN9rocsparseL27csrsv_analysis_lower_kernelILj1024ELj64ELb1EiiEEvT3_PKT2_PKS1_PS2_PiS7_PS1_21rocsparse_index_base_20rocsparse_diag_type_.num_vgpr, 15
	.set _ZN9rocsparseL27csrsv_analysis_lower_kernelILj1024ELj64ELb1EiiEEvT3_PKT2_PKS1_PS2_PiS7_PS1_21rocsparse_index_base_20rocsparse_diag_type_.num_agpr, 0
	.set _ZN9rocsparseL27csrsv_analysis_lower_kernelILj1024ELj64ELb1EiiEEvT3_PKT2_PKS1_PS2_PiS7_PS1_21rocsparse_index_base_20rocsparse_diag_type_.numbered_sgpr, 32
	.set _ZN9rocsparseL27csrsv_analysis_lower_kernelILj1024ELj64ELb1EiiEEvT3_PKT2_PKS1_PS2_PiS7_PS1_21rocsparse_index_base_20rocsparse_diag_type_.num_named_barrier, 0
	.set _ZN9rocsparseL27csrsv_analysis_lower_kernelILj1024ELj64ELb1EiiEEvT3_PKT2_PKS1_PS2_PiS7_PS1_21rocsparse_index_base_20rocsparse_diag_type_.private_seg_size, 0
	.set _ZN9rocsparseL27csrsv_analysis_lower_kernelILj1024ELj64ELb1EiiEEvT3_PKT2_PKS1_PS2_PiS7_PS1_21rocsparse_index_base_20rocsparse_diag_type_.uses_vcc, 1
	.set _ZN9rocsparseL27csrsv_analysis_lower_kernelILj1024ELj64ELb1EiiEEvT3_PKT2_PKS1_PS2_PiS7_PS1_21rocsparse_index_base_20rocsparse_diag_type_.uses_flat_scratch, 0
	.set _ZN9rocsparseL27csrsv_analysis_lower_kernelILj1024ELj64ELb1EiiEEvT3_PKT2_PKS1_PS2_PiS7_PS1_21rocsparse_index_base_20rocsparse_diag_type_.has_dyn_sized_stack, 0
	.set _ZN9rocsparseL27csrsv_analysis_lower_kernelILj1024ELj64ELb1EiiEEvT3_PKT2_PKS1_PS2_PiS7_PS1_21rocsparse_index_base_20rocsparse_diag_type_.has_recursion, 0
	.set _ZN9rocsparseL27csrsv_analysis_lower_kernelILj1024ELj64ELb1EiiEEvT3_PKT2_PKS1_PS2_PiS7_PS1_21rocsparse_index_base_20rocsparse_diag_type_.has_indirect_call, 0
	.section	.AMDGPU.csdata,"",@progbits
; Kernel info:
; codeLenInByte = 1092
; TotalNumSgprs: 36
; NumVgprs: 15
; ScratchSize: 0
; MemoryBound: 0
; FloatMode: 240
; IeeeMode: 1
; LDSByteSize: 64 bytes/workgroup (compile time only)
; SGPRBlocks: 4
; VGPRBlocks: 3
; NumSGPRsForWavesPerEU: 36
; NumVGPRsForWavesPerEU: 15
; Occupancy: 10
; WaveLimiterHint : 1
; COMPUTE_PGM_RSRC2:SCRATCH_EN: 0
; COMPUTE_PGM_RSRC2:USER_SGPR: 6
; COMPUTE_PGM_RSRC2:TRAP_HANDLER: 0
; COMPUTE_PGM_RSRC2:TGID_X_EN: 1
; COMPUTE_PGM_RSRC2:TGID_Y_EN: 0
; COMPUTE_PGM_RSRC2:TGID_Z_EN: 0
; COMPUTE_PGM_RSRC2:TIDIG_COMP_CNT: 0
	.section	.text._ZN9rocsparseL27csrsv_analysis_upper_kernelILj1024ELj32ELb0EiiEEvT3_PKT2_PKS1_PS2_PiS7_PS1_21rocsparse_index_base_20rocsparse_diag_type_,"axG",@progbits,_ZN9rocsparseL27csrsv_analysis_upper_kernelILj1024ELj32ELb0EiiEEvT3_PKT2_PKS1_PS2_PiS7_PS1_21rocsparse_index_base_20rocsparse_diag_type_,comdat
	.globl	_ZN9rocsparseL27csrsv_analysis_upper_kernelILj1024ELj32ELb0EiiEEvT3_PKT2_PKS1_PS2_PiS7_PS1_21rocsparse_index_base_20rocsparse_diag_type_ ; -- Begin function _ZN9rocsparseL27csrsv_analysis_upper_kernelILj1024ELj32ELb0EiiEEvT3_PKT2_PKS1_PS2_PiS7_PS1_21rocsparse_index_base_20rocsparse_diag_type_
	.p2align	8
	.type	_ZN9rocsparseL27csrsv_analysis_upper_kernelILj1024ELj32ELb0EiiEEvT3_PKT2_PKS1_PS2_PiS7_PS1_21rocsparse_index_base_20rocsparse_diag_type_,@function
_ZN9rocsparseL27csrsv_analysis_upper_kernelILj1024ELj32ELb0EiiEEvT3_PKT2_PKS1_PS2_PiS7_PS1_21rocsparse_index_base_20rocsparse_diag_type_: ; @_ZN9rocsparseL27csrsv_analysis_upper_kernelILj1024ELj32ELb0EiiEEvT3_PKT2_PKS1_PS2_PiS7_PS1_21rocsparse_index_base_20rocsparse_diag_type_
; %bb.0:
	s_load_dword s28, s[4:5], 0x0
	s_lshl_b32 s29, s6, 5
	s_not_b32 s0, s29
	v_lshrrev_b32_e32 v2, 5, v0
	v_lshlrev_b32_e32 v8, 2, v2
	s_waitcnt lgkmcnt(0)
	s_add_i32 s30, s28, s0
	v_sub_u32_e32 v1, s30, v2
	v_mov_b32_e32 v2, 0
	v_cmp_lt_i32_e32 vcc, -1, v1
	ds_write_b32 v8, v2
	s_waitcnt lgkmcnt(0)
	s_barrier
	s_and_saveexec_b64 s[0:1], vcc
	s_cbranch_execz .LBB2_33
; %bb.1:
	s_load_dwordx2 s[0:1], s[4:5], 0x8
	s_load_dwordx4 s[8:11], s[4:5], 0x18
	v_and_b32_e32 v0, 31, v0
	v_lshlrev_b64 v[2:3], 2, v[1:2]
	v_cmp_eq_u32_e32 vcc, 0, v0
	s_and_saveexec_b64 s[2:3], vcc
	s_cbranch_execz .LBB2_3
; %bb.2:
	s_waitcnt lgkmcnt(0)
	v_mov_b32_e32 v5, s9
	v_add_co_u32_e32 v4, vcc, s8, v2
	v_addc_co_u32_e32 v5, vcc, v5, v3, vcc
	v_mov_b32_e32 v6, -1
	global_store_dword v[4:5], v6, off
.LBB2_3:
	s_or_b64 exec, exec, s[2:3]
	s_waitcnt lgkmcnt(0)
	v_mov_b32_e32 v5, s1
	v_add_co_u32_e32 v4, vcc, s0, v2
	v_addc_co_u32_e32 v5, vcc, v5, v3, vcc
	global_load_dwordx2 v[4:5], v[4:5], off
	s_load_dwordx2 s[6:7], s[4:5], 0x38
	s_load_dwordx4 s[0:3], s[4:5], 0x28
	v_mov_b32_e32 v6, 0
	s_waitcnt vmcnt(0) lgkmcnt(0)
	v_subrev_u32_e32 v10, s6, v5
	v_subrev_u32_e32 v9, s6, v4
	v_xad_u32 v7, v0, -1, v10
	v_cmp_ge_i32_e32 vcc, v7, v9
	s_and_saveexec_b64 s[12:13], vcc
	s_cbranch_execz .LBB2_23
; %bb.4:
	s_load_dwordx2 s[4:5], s[4:5], 0x10
	v_mov_b32_e32 v6, 0
	s_mov_b64 s[14:15], 0
                                        ; implicit-def: $sgpr16_sgpr17
                                        ; implicit-def: $sgpr20_sgpr21
                                        ; implicit-def: $sgpr18_sgpr19
	s_waitcnt lgkmcnt(0)
	v_mov_b32_e32 v12, s5
	s_branch .LBB2_7
.LBB2_5:                                ;   in Loop: Header=BB2_7 Depth=1
	s_or_b64 exec, exec, s[24:25]
	v_subrev_u32_e32 v7, 32, v4
	v_cmp_lt_i32_e32 vcc, v7, v9
	s_andn2_b64 s[20:21], s[20:21], exec
	s_and_b64 s[24:25], vcc, exec
	v_max_i32_e32 v6, v13, v11
	s_andn2_b64 s[18:19], s[18:19], exec
	s_or_b64 s[20:21], s[20:21], s[24:25]
.LBB2_6:                                ;   in Loop: Header=BB2_7 Depth=1
	s_or_b64 exec, exec, s[22:23]
	s_and_b64 s[22:23], exec, s[20:21]
	s_or_b64 s[14:15], s[22:23], s[14:15]
	s_andn2_b64 s[16:17], s[16:17], exec
	s_and_b64 s[22:23], s[18:19], exec
	s_or_b64 s[16:17], s[16:17], s[22:23]
	s_andn2_b64 exec, exec, s[14:15]
	s_cbranch_execz .LBB2_12
.LBB2_7:                                ; =>This Loop Header: Depth=1
                                        ;     Child Loop BB2_10 Depth 2
	v_mov_b32_e32 v4, v7
	v_ashrrev_i32_e32 v5, 31, v4
	v_lshlrev_b64 v[13:14], 2, v[4:5]
	v_mov_b32_e32 v11, v6
	v_add_co_u32_e32 v13, vcc, s4, v13
	v_addc_co_u32_e32 v14, vcc, v12, v14, vcc
	global_load_dword v5, v[13:14], off glc slc
	s_or_b64 s[18:19], s[18:19], exec
	s_or_b64 s[20:21], s[20:21], exec
                                        ; implicit-def: $vgpr7
                                        ; implicit-def: $vgpr6
	s_waitcnt vmcnt(0)
	v_subrev_u32_e32 v5, s6, v5
	v_cmp_lt_i32_e32 vcc, s30, v5
	s_and_saveexec_b64 s[22:23], vcc
	s_cbranch_execz .LBB2_6
; %bb.8:                                ;   in Loop: Header=BB2_7 Depth=1
	v_ashrrev_i32_e32 v6, 31, v5
	v_lshlrev_b64 v[6:7], 2, v[5:6]
	v_mov_b32_e32 v13, s11
	v_add_co_u32_e32 v6, vcc, s10, v6
	v_addc_co_u32_e32 v7, vcc, v13, v7, vcc
	global_load_dword v13, v[6:7], off glc
	s_waitcnt vmcnt(0)
	v_cmp_eq_u32_e32 vcc, 0, v13
	s_and_saveexec_b64 s[24:25], vcc
	s_cbranch_execz .LBB2_5
; %bb.9:                                ;   in Loop: Header=BB2_7 Depth=1
	s_mov_b64 s[26:27], 0
.LBB2_10:                               ;   Parent Loop BB2_7 Depth=1
                                        ; =>  This Inner Loop Header: Depth=2
	global_load_dword v13, v[6:7], off glc
	s_waitcnt vmcnt(0)
	v_cmp_ne_u32_e32 vcc, 0, v13
	s_or_b64 s[26:27], vcc, s[26:27]
	s_andn2_b64 exec, exec, s[26:27]
	s_cbranch_execnz .LBB2_10
; %bb.11:                               ;   in Loop: Header=BB2_7 Depth=1
	s_or_b64 exec, exec, s[26:27]
	s_branch .LBB2_5
.LBB2_12:
	s_or_b64 exec, exec, s[14:15]
	s_and_saveexec_b64 s[4:5], s[16:17]
	s_xor_b64 s[4:5], exec, s[4:5]
	s_cbranch_execz .LBB2_22
; %bb.13:
	v_cmp_eq_u32_e32 vcc, v5, v1
	s_and_saveexec_b64 s[14:15], vcc
	s_cbranch_execz .LBB2_15
; %bb.14:
	v_mov_b32_e32 v7, s9
	v_add_co_u32_e32 v6, vcc, s8, v2
	v_addc_co_u32_e32 v7, vcc, v7, v3, vcc
	global_store_dword v[6:7], v4, off
.LBB2_15:
	s_or_b64 exec, exec, s[14:15]
	v_cmp_gt_i32_e32 vcc, v5, v1
	s_and_saveexec_b64 s[14:15], vcc
	s_cbranch_execz .LBB2_21
; %bb.16:
	s_xor_b32 s16, s29, 0x3fffffe0
	s_add_i32 s28, s28, s16
	v_sub_u32_e32 v4, s28, v5
	v_lshlrev_b32_e32 v5, 2, v4
	ds_read_b32 v4, v5 offset:124
	s_waitcnt lgkmcnt(0)
	v_cmp_eq_u32_e32 vcc, 0, v4
	s_and_saveexec_b64 s[16:17], vcc
	s_cbranch_execz .LBB2_20
; %bb.17:
	s_mov_b64 s[18:19], 0
.LBB2_18:                               ; =>This Inner Loop Header: Depth=1
	ds_read_b32 v4, v5 offset:124
	s_waitcnt lgkmcnt(0)
	v_cmp_ne_u32_e32 vcc, 0, v4
	s_or_b64 s[18:19], vcc, s[18:19]
	s_andn2_b64 exec, exec, s[18:19]
	s_cbranch_execnz .LBB2_18
; %bb.19:
	s_or_b64 exec, exec, s[18:19]
.LBB2_20:
	s_or_b64 exec, exec, s[16:17]
	v_max_i32_e32 v11, v4, v11
.LBB2_21:
	s_or_b64 exec, exec, s[14:15]
	v_mov_b32_e32 v6, v11
.LBB2_22:
	s_or_b64 exec, exec, s[4:5]
.LBB2_23:
	s_or_b64 exec, exec, s[12:13]
	v_mov_b32_dpp v4, v6 row_shr:1 row_mask:0xf bank_mask:0xf
	v_max_i32_e32 v4, v6, v4
	v_cmp_eq_u32_e32 vcc, 31, v0
	s_nop 0
	v_mov_b32_dpp v5, v4 row_shr:2 row_mask:0xf bank_mask:0xf
	v_max_i32_e32 v4, v4, v5
	s_nop 1
	v_mov_b32_dpp v5, v4 row_shr:4 row_mask:0xf bank_mask:0xe
	v_max_i32_e32 v4, v4, v5
	;; [unrolled: 3-line block ×3, first 2 shown]
	s_nop 1
	v_mov_b32_dpp v5, v4 row_bcast:15 row_mask:0xa bank_mask:0xf
	s_and_b64 exec, exec, vcc
	s_cbranch_execz .LBB2_33
; %bb.24:
	v_max_i32_e32 v0, v4, v5
	v_mov_b32_e32 v5, s11
	v_add_co_u32_e32 v4, vcc, s10, v2
	v_add_u32_e32 v0, 1, v0
	v_addc_co_u32_e32 v5, vcc, v5, v3, vcc
	s_mov_b64 s[4:5], exec
	ds_write_b32 v8, v0
	global_store_dword v[4:5], v0, off
	v_sub_u32_e32 v0, v10, v9
	s_brev_b32 s10, 1
.LBB2_25:                               ; =>This Inner Loop Header: Depth=1
	s_ff1_i32_b64 s11, s[4:5]
	v_readlane_b32 s14, v0, s11
	s_lshl_b64 s[12:13], 1, s11
	s_max_i32 s10, s10, s14
	s_andn2_b64 s[4:5], s[4:5], s[12:13]
	s_cmp_lg_u64 s[4:5], 0
	s_cbranch_scc1 .LBB2_25
; %bb.26:
	v_mbcnt_lo_u32_b32 v0, exec_lo, 0
	v_mbcnt_hi_u32_b32 v0, exec_hi, v0
	v_cmp_eq_u32_e32 vcc, 0, v0
	s_and_saveexec_b64 s[4:5], vcc
	s_xor_b64 s[4:5], exec, s[4:5]
	s_cbranch_execz .LBB2_28
; %bb.27:
	v_mov_b32_e32 v0, 0
	v_mov_b32_e32 v4, s10
	global_atomic_smax v0, v4, s[0:1]
.LBB2_28:
	s_or_b64 exec, exec, s[4:5]
	v_mov_b32_e32 v0, s9
	v_add_co_u32_e32 v2, vcc, s8, v2
	v_addc_co_u32_e32 v3, vcc, v0, v3, vcc
	global_load_dword v0, v[2:3], off
	s_cmp_eq_u32 s7, 0
	s_cselect_b64 s[0:1], -1, 0
	s_waitcnt vmcnt(0)
	v_cmp_eq_u32_e32 vcc, -1, v0
	s_and_b64 s[0:1], s[0:1], vcc
	s_and_b64 exec, exec, s[0:1]
	s_cbranch_execz .LBB2_33
; %bb.29:
	s_mov_b64 s[0:1], exec
	v_add_u32_e32 v0, s6, v1
	s_brev_b32 s4, -2
.LBB2_30:                               ; =>This Inner Loop Header: Depth=1
	s_ff1_i32_b64 s5, s[0:1]
	v_readlane_b32 s8, v0, s5
	s_lshl_b64 s[6:7], 1, s5
	s_min_i32 s4, s4, s8
	s_andn2_b64 s[0:1], s[0:1], s[6:7]
	s_cmp_lg_u64 s[0:1], 0
	s_cbranch_scc1 .LBB2_30
; %bb.31:
	v_mbcnt_lo_u32_b32 v0, exec_lo, 0
	v_mbcnt_hi_u32_b32 v0, exec_hi, v0
	v_cmp_eq_u32_e32 vcc, 0, v0
	s_and_saveexec_b64 s[0:1], vcc
	s_xor_b64 s[0:1], exec, s[0:1]
	s_cbranch_execz .LBB2_33
; %bb.32:
	v_mov_b32_e32 v0, 0
	v_mov_b32_e32 v1, s4
	global_atomic_smin v0, v1, s[2:3]
.LBB2_33:
	s_endpgm
	.section	.rodata,"a",@progbits
	.p2align	6, 0x0
	.amdhsa_kernel _ZN9rocsparseL27csrsv_analysis_upper_kernelILj1024ELj32ELb0EiiEEvT3_PKT2_PKS1_PS2_PiS7_PS1_21rocsparse_index_base_20rocsparse_diag_type_
		.amdhsa_group_segment_fixed_size 128
		.amdhsa_private_segment_fixed_size 0
		.amdhsa_kernarg_size 64
		.amdhsa_user_sgpr_count 6
		.amdhsa_user_sgpr_private_segment_buffer 1
		.amdhsa_user_sgpr_dispatch_ptr 0
		.amdhsa_user_sgpr_queue_ptr 0
		.amdhsa_user_sgpr_kernarg_segment_ptr 1
		.amdhsa_user_sgpr_dispatch_id 0
		.amdhsa_user_sgpr_flat_scratch_init 0
		.amdhsa_user_sgpr_private_segment_size 0
		.amdhsa_uses_dynamic_stack 0
		.amdhsa_system_sgpr_private_segment_wavefront_offset 0
		.amdhsa_system_sgpr_workgroup_id_x 1
		.amdhsa_system_sgpr_workgroup_id_y 0
		.amdhsa_system_sgpr_workgroup_id_z 0
		.amdhsa_system_sgpr_workgroup_info 0
		.amdhsa_system_vgpr_workitem_id 0
		.amdhsa_next_free_vgpr 15
		.amdhsa_next_free_sgpr 31
		.amdhsa_reserve_vcc 1
		.amdhsa_reserve_flat_scratch 0
		.amdhsa_float_round_mode_32 0
		.amdhsa_float_round_mode_16_64 0
		.amdhsa_float_denorm_mode_32 3
		.amdhsa_float_denorm_mode_16_64 3
		.amdhsa_dx10_clamp 1
		.amdhsa_ieee_mode 1
		.amdhsa_fp16_overflow 0
		.amdhsa_exception_fp_ieee_invalid_op 0
		.amdhsa_exception_fp_denorm_src 0
		.amdhsa_exception_fp_ieee_div_zero 0
		.amdhsa_exception_fp_ieee_overflow 0
		.amdhsa_exception_fp_ieee_underflow 0
		.amdhsa_exception_fp_ieee_inexact 0
		.amdhsa_exception_int_div_zero 0
	.end_amdhsa_kernel
	.section	.text._ZN9rocsparseL27csrsv_analysis_upper_kernelILj1024ELj32ELb0EiiEEvT3_PKT2_PKS1_PS2_PiS7_PS1_21rocsparse_index_base_20rocsparse_diag_type_,"axG",@progbits,_ZN9rocsparseL27csrsv_analysis_upper_kernelILj1024ELj32ELb0EiiEEvT3_PKT2_PKS1_PS2_PiS7_PS1_21rocsparse_index_base_20rocsparse_diag_type_,comdat
.Lfunc_end2:
	.size	_ZN9rocsparseL27csrsv_analysis_upper_kernelILj1024ELj32ELb0EiiEEvT3_PKT2_PKS1_PS2_PiS7_PS1_21rocsparse_index_base_20rocsparse_diag_type_, .Lfunc_end2-_ZN9rocsparseL27csrsv_analysis_upper_kernelILj1024ELj32ELb0EiiEEvT3_PKT2_PKS1_PS2_PiS7_PS1_21rocsparse_index_base_20rocsparse_diag_type_
                                        ; -- End function
	.set _ZN9rocsparseL27csrsv_analysis_upper_kernelILj1024ELj32ELb0EiiEEvT3_PKT2_PKS1_PS2_PiS7_PS1_21rocsparse_index_base_20rocsparse_diag_type_.num_vgpr, 15
	.set _ZN9rocsparseL27csrsv_analysis_upper_kernelILj1024ELj32ELb0EiiEEvT3_PKT2_PKS1_PS2_PiS7_PS1_21rocsparse_index_base_20rocsparse_diag_type_.num_agpr, 0
	.set _ZN9rocsparseL27csrsv_analysis_upper_kernelILj1024ELj32ELb0EiiEEvT3_PKT2_PKS1_PS2_PiS7_PS1_21rocsparse_index_base_20rocsparse_diag_type_.numbered_sgpr, 31
	.set _ZN9rocsparseL27csrsv_analysis_upper_kernelILj1024ELj32ELb0EiiEEvT3_PKT2_PKS1_PS2_PiS7_PS1_21rocsparse_index_base_20rocsparse_diag_type_.num_named_barrier, 0
	.set _ZN9rocsparseL27csrsv_analysis_upper_kernelILj1024ELj32ELb0EiiEEvT3_PKT2_PKS1_PS2_PiS7_PS1_21rocsparse_index_base_20rocsparse_diag_type_.private_seg_size, 0
	.set _ZN9rocsparseL27csrsv_analysis_upper_kernelILj1024ELj32ELb0EiiEEvT3_PKT2_PKS1_PS2_PiS7_PS1_21rocsparse_index_base_20rocsparse_diag_type_.uses_vcc, 1
	.set _ZN9rocsparseL27csrsv_analysis_upper_kernelILj1024ELj32ELb0EiiEEvT3_PKT2_PKS1_PS2_PiS7_PS1_21rocsparse_index_base_20rocsparse_diag_type_.uses_flat_scratch, 0
	.set _ZN9rocsparseL27csrsv_analysis_upper_kernelILj1024ELj32ELb0EiiEEvT3_PKT2_PKS1_PS2_PiS7_PS1_21rocsparse_index_base_20rocsparse_diag_type_.has_dyn_sized_stack, 0
	.set _ZN9rocsparseL27csrsv_analysis_upper_kernelILj1024ELj32ELb0EiiEEvT3_PKT2_PKS1_PS2_PiS7_PS1_21rocsparse_index_base_20rocsparse_diag_type_.has_recursion, 0
	.set _ZN9rocsparseL27csrsv_analysis_upper_kernelILj1024ELj32ELb0EiiEEvT3_PKT2_PKS1_PS2_PiS7_PS1_21rocsparse_index_base_20rocsparse_diag_type_.has_indirect_call, 0
	.section	.AMDGPU.csdata,"",@progbits
; Kernel info:
; codeLenInByte = 988
; TotalNumSgprs: 35
; NumVgprs: 15
; ScratchSize: 0
; MemoryBound: 0
; FloatMode: 240
; IeeeMode: 1
; LDSByteSize: 128 bytes/workgroup (compile time only)
; SGPRBlocks: 4
; VGPRBlocks: 3
; NumSGPRsForWavesPerEU: 35
; NumVGPRsForWavesPerEU: 15
; Occupancy: 10
; WaveLimiterHint : 1
; COMPUTE_PGM_RSRC2:SCRATCH_EN: 0
; COMPUTE_PGM_RSRC2:USER_SGPR: 6
; COMPUTE_PGM_RSRC2:TRAP_HANDLER: 0
; COMPUTE_PGM_RSRC2:TGID_X_EN: 1
; COMPUTE_PGM_RSRC2:TGID_Y_EN: 0
; COMPUTE_PGM_RSRC2:TGID_Z_EN: 0
; COMPUTE_PGM_RSRC2:TIDIG_COMP_CNT: 0
	.section	.text._ZN9rocsparseL27csrsv_analysis_lower_kernelILj1024ELj32ELb0EiiEEvT3_PKT2_PKS1_PS2_PiS7_PS1_21rocsparse_index_base_20rocsparse_diag_type_,"axG",@progbits,_ZN9rocsparseL27csrsv_analysis_lower_kernelILj1024ELj32ELb0EiiEEvT3_PKT2_PKS1_PS2_PiS7_PS1_21rocsparse_index_base_20rocsparse_diag_type_,comdat
	.globl	_ZN9rocsparseL27csrsv_analysis_lower_kernelILj1024ELj32ELb0EiiEEvT3_PKT2_PKS1_PS2_PiS7_PS1_21rocsparse_index_base_20rocsparse_diag_type_ ; -- Begin function _ZN9rocsparseL27csrsv_analysis_lower_kernelILj1024ELj32ELb0EiiEEvT3_PKT2_PKS1_PS2_PiS7_PS1_21rocsparse_index_base_20rocsparse_diag_type_
	.p2align	8
	.type	_ZN9rocsparseL27csrsv_analysis_lower_kernelILj1024ELj32ELb0EiiEEvT3_PKT2_PKS1_PS2_PiS7_PS1_21rocsparse_index_base_20rocsparse_diag_type_,@function
_ZN9rocsparseL27csrsv_analysis_lower_kernelILj1024ELj32ELb0EiiEEvT3_PKT2_PKS1_PS2_PiS7_PS1_21rocsparse_index_base_20rocsparse_diag_type_: ; @_ZN9rocsparseL27csrsv_analysis_lower_kernelILj1024ELj32ELb0EiiEEvT3_PKT2_PKS1_PS2_PiS7_PS1_21rocsparse_index_base_20rocsparse_diag_type_
; %bb.0:
	s_load_dword s0, s[4:5], 0x0
	v_lshrrev_b32_e32 v2, 5, v0
	s_lshl_b32 s28, s6, 5
	v_or_b32_e32 v1, s28, v2
	v_lshlrev_b32_e32 v8, 2, v2
	v_mov_b32_e32 v2, 0
	s_waitcnt lgkmcnt(0)
	v_cmp_gt_i32_e32 vcc, s0, v1
	ds_write_b32 v8, v2
	s_waitcnt lgkmcnt(0)
	s_barrier
	s_and_saveexec_b64 s[0:1], vcc
	s_cbranch_execz .LBB3_33
; %bb.1:
	s_load_dwordx2 s[0:1], s[4:5], 0x8
	s_load_dwordx4 s[8:11], s[4:5], 0x18
	v_ashrrev_i32_e32 v2, 31, v1
	v_and_b32_e32 v0, 31, v0
	v_lshlrev_b64 v[2:3], 2, v[1:2]
	v_cmp_eq_u32_e32 vcc, 0, v0
	s_and_saveexec_b64 s[2:3], vcc
	s_cbranch_execz .LBB3_3
; %bb.2:
	s_waitcnt lgkmcnt(0)
	v_mov_b32_e32 v5, s9
	v_add_co_u32_e32 v4, vcc, s8, v2
	v_addc_co_u32_e32 v5, vcc, v5, v3, vcc
	v_mov_b32_e32 v6, -1
	global_store_dword v[4:5], v6, off
.LBB3_3:
	s_or_b64 exec, exec, s[2:3]
	s_waitcnt lgkmcnt(0)
	v_mov_b32_e32 v5, s1
	v_add_co_u32_e32 v4, vcc, s0, v2
	v_addc_co_u32_e32 v5, vcc, v5, v3, vcc
	global_load_dwordx2 v[4:5], v[4:5], off
	s_load_dwordx2 s[6:7], s[4:5], 0x38
	s_load_dwordx4 s[0:3], s[4:5], 0x28
	v_mov_b32_e32 v6, 0
	s_waitcnt vmcnt(0) lgkmcnt(0)
	v_subrev_u32_e32 v9, s6, v4
	v_subrev_u32_e32 v10, s6, v5
	v_add_u32_e32 v7, v9, v0
	v_cmp_lt_i32_e32 vcc, v7, v10
	s_and_saveexec_b64 s[12:13], vcc
	s_cbranch_execz .LBB3_23
; %bb.4:
	s_load_dwordx2 s[4:5], s[4:5], 0x10
	v_mov_b32_e32 v6, 0
	s_mov_b64 s[14:15], 0
                                        ; implicit-def: $sgpr16_sgpr17
                                        ; implicit-def: $sgpr20_sgpr21
                                        ; implicit-def: $sgpr18_sgpr19
	s_waitcnt lgkmcnt(0)
	v_mov_b32_e32 v12, s5
	s_branch .LBB3_7
.LBB3_5:                                ;   in Loop: Header=BB3_7 Depth=1
	s_or_b64 exec, exec, s[24:25]
	v_add_u32_e32 v7, 32, v4
	v_cmp_ge_i32_e32 vcc, v7, v10
	s_andn2_b64 s[20:21], s[20:21], exec
	s_and_b64 s[24:25], vcc, exec
	v_max_i32_e32 v6, v13, v11
	s_andn2_b64 s[18:19], s[18:19], exec
	s_or_b64 s[20:21], s[20:21], s[24:25]
.LBB3_6:                                ;   in Loop: Header=BB3_7 Depth=1
	s_or_b64 exec, exec, s[22:23]
	s_and_b64 s[22:23], exec, s[20:21]
	s_or_b64 s[14:15], s[22:23], s[14:15]
	s_andn2_b64 s[16:17], s[16:17], exec
	s_and_b64 s[22:23], s[18:19], exec
	s_or_b64 s[16:17], s[16:17], s[22:23]
	s_andn2_b64 exec, exec, s[14:15]
	s_cbranch_execz .LBB3_12
.LBB3_7:                                ; =>This Loop Header: Depth=1
                                        ;     Child Loop BB3_10 Depth 2
	v_mov_b32_e32 v4, v7
	v_ashrrev_i32_e32 v5, 31, v4
	v_lshlrev_b64 v[13:14], 2, v[4:5]
	v_mov_b32_e32 v11, v6
	v_add_co_u32_e32 v13, vcc, s4, v13
	v_addc_co_u32_e32 v14, vcc, v12, v14, vcc
	global_load_dword v5, v[13:14], off glc slc
	s_or_b64 s[18:19], s[18:19], exec
	s_or_b64 s[20:21], s[20:21], exec
                                        ; implicit-def: $vgpr7
                                        ; implicit-def: $vgpr6
	s_waitcnt vmcnt(0)
	v_subrev_u32_e32 v5, s6, v5
	v_cmp_gt_i32_e32 vcc, s28, v5
	s_and_saveexec_b64 s[22:23], vcc
	s_cbranch_execz .LBB3_6
; %bb.8:                                ;   in Loop: Header=BB3_7 Depth=1
	v_ashrrev_i32_e32 v6, 31, v5
	v_lshlrev_b64 v[6:7], 2, v[5:6]
	v_mov_b32_e32 v13, s11
	v_add_co_u32_e32 v6, vcc, s10, v6
	v_addc_co_u32_e32 v7, vcc, v13, v7, vcc
	global_load_dword v13, v[6:7], off glc
	s_waitcnt vmcnt(0)
	v_cmp_eq_u32_e32 vcc, 0, v13
	s_and_saveexec_b64 s[24:25], vcc
	s_cbranch_execz .LBB3_5
; %bb.9:                                ;   in Loop: Header=BB3_7 Depth=1
	s_mov_b64 s[26:27], 0
.LBB3_10:                               ;   Parent Loop BB3_7 Depth=1
                                        ; =>  This Inner Loop Header: Depth=2
	global_load_dword v13, v[6:7], off glc
	s_waitcnt vmcnt(0)
	v_cmp_ne_u32_e32 vcc, 0, v13
	s_or_b64 s[26:27], vcc, s[26:27]
	s_andn2_b64 exec, exec, s[26:27]
	s_cbranch_execnz .LBB3_10
; %bb.11:                               ;   in Loop: Header=BB3_7 Depth=1
	s_or_b64 exec, exec, s[26:27]
	s_branch .LBB3_5
.LBB3_12:
	s_or_b64 exec, exec, s[14:15]
	s_and_saveexec_b64 s[4:5], s[16:17]
	s_xor_b64 s[4:5], exec, s[4:5]
	s_cbranch_execz .LBB3_22
; %bb.13:
	v_cmp_eq_u32_e32 vcc, v5, v1
	s_and_saveexec_b64 s[14:15], vcc
	s_cbranch_execz .LBB3_15
; %bb.14:
	v_mov_b32_e32 v7, s9
	v_add_co_u32_e32 v6, vcc, s8, v2
	v_addc_co_u32_e32 v7, vcc, v7, v3, vcc
	global_store_dword v[6:7], v4, off
.LBB3_15:
	s_or_b64 exec, exec, s[14:15]
	v_cmp_lt_i32_e32 vcc, v5, v1
	s_and_saveexec_b64 s[14:15], vcc
	s_cbranch_execz .LBB3_21
; %bb.16:
	v_subrev_u32_e32 v4, s28, v5
	v_lshlrev_b32_e32 v5, 2, v4
	ds_read_b32 v4, v5
	s_waitcnt lgkmcnt(0)
	v_cmp_eq_u32_e32 vcc, 0, v4
	s_and_saveexec_b64 s[16:17], vcc
	s_cbranch_execz .LBB3_20
; %bb.17:
	s_mov_b64 s[18:19], 0
.LBB3_18:                               ; =>This Inner Loop Header: Depth=1
	ds_read_b32 v4, v5
	s_waitcnt lgkmcnt(0)
	v_cmp_ne_u32_e32 vcc, 0, v4
	s_or_b64 s[18:19], vcc, s[18:19]
	s_andn2_b64 exec, exec, s[18:19]
	s_cbranch_execnz .LBB3_18
; %bb.19:
	s_or_b64 exec, exec, s[18:19]
.LBB3_20:
	s_or_b64 exec, exec, s[16:17]
	v_max_i32_e32 v11, v4, v11
.LBB3_21:
	s_or_b64 exec, exec, s[14:15]
	v_mov_b32_e32 v6, v11
.LBB3_22:
	s_or_b64 exec, exec, s[4:5]
.LBB3_23:
	s_or_b64 exec, exec, s[12:13]
	v_mov_b32_dpp v4, v6 row_shr:1 row_mask:0xf bank_mask:0xf
	v_max_i32_e32 v4, v6, v4
	v_cmp_eq_u32_e32 vcc, 31, v0
	s_nop 0
	v_mov_b32_dpp v5, v4 row_shr:2 row_mask:0xf bank_mask:0xf
	v_max_i32_e32 v4, v4, v5
	s_nop 1
	v_mov_b32_dpp v5, v4 row_shr:4 row_mask:0xf bank_mask:0xe
	v_max_i32_e32 v4, v4, v5
	;; [unrolled: 3-line block ×3, first 2 shown]
	s_nop 1
	v_mov_b32_dpp v5, v4 row_bcast:15 row_mask:0xa bank_mask:0xf
	s_and_b64 exec, exec, vcc
	s_cbranch_execz .LBB3_33
; %bb.24:
	v_max_i32_e32 v0, v4, v5
	v_mov_b32_e32 v5, s11
	v_add_co_u32_e32 v4, vcc, s10, v2
	v_add_u32_e32 v0, 1, v0
	v_addc_co_u32_e32 v5, vcc, v5, v3, vcc
	s_mov_b64 s[4:5], exec
	ds_write_b32 v8, v0
	global_store_dword v[4:5], v0, off
	v_sub_u32_e32 v0, v10, v9
	s_brev_b32 s10, 1
.LBB3_25:                               ; =>This Inner Loop Header: Depth=1
	s_ff1_i32_b64 s11, s[4:5]
	v_readlane_b32 s14, v0, s11
	s_lshl_b64 s[12:13], 1, s11
	s_max_i32 s10, s10, s14
	s_andn2_b64 s[4:5], s[4:5], s[12:13]
	s_cmp_lg_u64 s[4:5], 0
	s_cbranch_scc1 .LBB3_25
; %bb.26:
	v_mbcnt_lo_u32_b32 v0, exec_lo, 0
	v_mbcnt_hi_u32_b32 v0, exec_hi, v0
	v_cmp_eq_u32_e32 vcc, 0, v0
	s_and_saveexec_b64 s[4:5], vcc
	s_xor_b64 s[4:5], exec, s[4:5]
	s_cbranch_execz .LBB3_28
; %bb.27:
	v_mov_b32_e32 v0, 0
	v_mov_b32_e32 v4, s10
	global_atomic_smax v0, v4, s[0:1]
.LBB3_28:
	s_or_b64 exec, exec, s[4:5]
	v_mov_b32_e32 v0, s9
	v_add_co_u32_e32 v2, vcc, s8, v2
	v_addc_co_u32_e32 v3, vcc, v0, v3, vcc
	global_load_dword v0, v[2:3], off
	s_cmp_eq_u32 s7, 0
	s_cselect_b64 s[0:1], -1, 0
	s_waitcnt vmcnt(0)
	v_cmp_eq_u32_e32 vcc, -1, v0
	s_and_b64 s[0:1], s[0:1], vcc
	s_and_b64 exec, exec, s[0:1]
	s_cbranch_execz .LBB3_33
; %bb.29:
	s_mov_b64 s[0:1], exec
	v_add_u32_e32 v0, s6, v1
	s_brev_b32 s4, -2
.LBB3_30:                               ; =>This Inner Loop Header: Depth=1
	s_ff1_i32_b64 s5, s[0:1]
	v_readlane_b32 s8, v0, s5
	s_lshl_b64 s[6:7], 1, s5
	s_min_i32 s4, s4, s8
	s_andn2_b64 s[0:1], s[0:1], s[6:7]
	s_cmp_lg_u64 s[0:1], 0
	s_cbranch_scc1 .LBB3_30
; %bb.31:
	v_mbcnt_lo_u32_b32 v0, exec_lo, 0
	v_mbcnt_hi_u32_b32 v0, exec_hi, v0
	v_cmp_eq_u32_e32 vcc, 0, v0
	s_and_saveexec_b64 s[0:1], vcc
	s_xor_b64 s[0:1], exec, s[0:1]
	s_cbranch_execz .LBB3_33
; %bb.32:
	v_mov_b32_e32 v0, 0
	v_mov_b32_e32 v1, s4
	global_atomic_smin v0, v1, s[2:3]
.LBB3_33:
	s_endpgm
	.section	.rodata,"a",@progbits
	.p2align	6, 0x0
	.amdhsa_kernel _ZN9rocsparseL27csrsv_analysis_lower_kernelILj1024ELj32ELb0EiiEEvT3_PKT2_PKS1_PS2_PiS7_PS1_21rocsparse_index_base_20rocsparse_diag_type_
		.amdhsa_group_segment_fixed_size 128
		.amdhsa_private_segment_fixed_size 0
		.amdhsa_kernarg_size 64
		.amdhsa_user_sgpr_count 6
		.amdhsa_user_sgpr_private_segment_buffer 1
		.amdhsa_user_sgpr_dispatch_ptr 0
		.amdhsa_user_sgpr_queue_ptr 0
		.amdhsa_user_sgpr_kernarg_segment_ptr 1
		.amdhsa_user_sgpr_dispatch_id 0
		.amdhsa_user_sgpr_flat_scratch_init 0
		.amdhsa_user_sgpr_private_segment_size 0
		.amdhsa_uses_dynamic_stack 0
		.amdhsa_system_sgpr_private_segment_wavefront_offset 0
		.amdhsa_system_sgpr_workgroup_id_x 1
		.amdhsa_system_sgpr_workgroup_id_y 0
		.amdhsa_system_sgpr_workgroup_id_z 0
		.amdhsa_system_sgpr_workgroup_info 0
		.amdhsa_system_vgpr_workitem_id 0
		.amdhsa_next_free_vgpr 15
		.amdhsa_next_free_sgpr 29
		.amdhsa_reserve_vcc 1
		.amdhsa_reserve_flat_scratch 0
		.amdhsa_float_round_mode_32 0
		.amdhsa_float_round_mode_16_64 0
		.amdhsa_float_denorm_mode_32 3
		.amdhsa_float_denorm_mode_16_64 3
		.amdhsa_dx10_clamp 1
		.amdhsa_ieee_mode 1
		.amdhsa_fp16_overflow 0
		.amdhsa_exception_fp_ieee_invalid_op 0
		.amdhsa_exception_fp_denorm_src 0
		.amdhsa_exception_fp_ieee_div_zero 0
		.amdhsa_exception_fp_ieee_overflow 0
		.amdhsa_exception_fp_ieee_underflow 0
		.amdhsa_exception_fp_ieee_inexact 0
		.amdhsa_exception_int_div_zero 0
	.end_amdhsa_kernel
	.section	.text._ZN9rocsparseL27csrsv_analysis_lower_kernelILj1024ELj32ELb0EiiEEvT3_PKT2_PKS1_PS2_PiS7_PS1_21rocsparse_index_base_20rocsparse_diag_type_,"axG",@progbits,_ZN9rocsparseL27csrsv_analysis_lower_kernelILj1024ELj32ELb0EiiEEvT3_PKT2_PKS1_PS2_PiS7_PS1_21rocsparse_index_base_20rocsparse_diag_type_,comdat
.Lfunc_end3:
	.size	_ZN9rocsparseL27csrsv_analysis_lower_kernelILj1024ELj32ELb0EiiEEvT3_PKT2_PKS1_PS2_PiS7_PS1_21rocsparse_index_base_20rocsparse_diag_type_, .Lfunc_end3-_ZN9rocsparseL27csrsv_analysis_lower_kernelILj1024ELj32ELb0EiiEEvT3_PKT2_PKS1_PS2_PiS7_PS1_21rocsparse_index_base_20rocsparse_diag_type_
                                        ; -- End function
	.set _ZN9rocsparseL27csrsv_analysis_lower_kernelILj1024ELj32ELb0EiiEEvT3_PKT2_PKS1_PS2_PiS7_PS1_21rocsparse_index_base_20rocsparse_diag_type_.num_vgpr, 15
	.set _ZN9rocsparseL27csrsv_analysis_lower_kernelILj1024ELj32ELb0EiiEEvT3_PKT2_PKS1_PS2_PiS7_PS1_21rocsparse_index_base_20rocsparse_diag_type_.num_agpr, 0
	.set _ZN9rocsparseL27csrsv_analysis_lower_kernelILj1024ELj32ELb0EiiEEvT3_PKT2_PKS1_PS2_PiS7_PS1_21rocsparse_index_base_20rocsparse_diag_type_.numbered_sgpr, 29
	.set _ZN9rocsparseL27csrsv_analysis_lower_kernelILj1024ELj32ELb0EiiEEvT3_PKT2_PKS1_PS2_PiS7_PS1_21rocsparse_index_base_20rocsparse_diag_type_.num_named_barrier, 0
	.set _ZN9rocsparseL27csrsv_analysis_lower_kernelILj1024ELj32ELb0EiiEEvT3_PKT2_PKS1_PS2_PiS7_PS1_21rocsparse_index_base_20rocsparse_diag_type_.private_seg_size, 0
	.set _ZN9rocsparseL27csrsv_analysis_lower_kernelILj1024ELj32ELb0EiiEEvT3_PKT2_PKS1_PS2_PiS7_PS1_21rocsparse_index_base_20rocsparse_diag_type_.uses_vcc, 1
	.set _ZN9rocsparseL27csrsv_analysis_lower_kernelILj1024ELj32ELb0EiiEEvT3_PKT2_PKS1_PS2_PiS7_PS1_21rocsparse_index_base_20rocsparse_diag_type_.uses_flat_scratch, 0
	.set _ZN9rocsparseL27csrsv_analysis_lower_kernelILj1024ELj32ELb0EiiEEvT3_PKT2_PKS1_PS2_PiS7_PS1_21rocsparse_index_base_20rocsparse_diag_type_.has_dyn_sized_stack, 0
	.set _ZN9rocsparseL27csrsv_analysis_lower_kernelILj1024ELj32ELb0EiiEEvT3_PKT2_PKS1_PS2_PiS7_PS1_21rocsparse_index_base_20rocsparse_diag_type_.has_recursion, 0
	.set _ZN9rocsparseL27csrsv_analysis_lower_kernelILj1024ELj32ELb0EiiEEvT3_PKT2_PKS1_PS2_PiS7_PS1_21rocsparse_index_base_20rocsparse_diag_type_.has_indirect_call, 0
	.section	.AMDGPU.csdata,"",@progbits
; Kernel info:
; codeLenInByte = 968
; TotalNumSgprs: 33
; NumVgprs: 15
; ScratchSize: 0
; MemoryBound: 0
; FloatMode: 240
; IeeeMode: 1
; LDSByteSize: 128 bytes/workgroup (compile time only)
; SGPRBlocks: 4
; VGPRBlocks: 3
; NumSGPRsForWavesPerEU: 33
; NumVGPRsForWavesPerEU: 15
; Occupancy: 10
; WaveLimiterHint : 1
; COMPUTE_PGM_RSRC2:SCRATCH_EN: 0
; COMPUTE_PGM_RSRC2:USER_SGPR: 6
; COMPUTE_PGM_RSRC2:TRAP_HANDLER: 0
; COMPUTE_PGM_RSRC2:TGID_X_EN: 1
; COMPUTE_PGM_RSRC2:TGID_Y_EN: 0
; COMPUTE_PGM_RSRC2:TGID_Z_EN: 0
; COMPUTE_PGM_RSRC2:TIDIG_COMP_CNT: 0
	.section	.text._ZN9rocsparseL27csrsv_analysis_upper_kernelILj1024ELj64ELb0EiiEEvT3_PKT2_PKS1_PS2_PiS7_PS1_21rocsparse_index_base_20rocsparse_diag_type_,"axG",@progbits,_ZN9rocsparseL27csrsv_analysis_upper_kernelILj1024ELj64ELb0EiiEEvT3_PKT2_PKS1_PS2_PiS7_PS1_21rocsparse_index_base_20rocsparse_diag_type_,comdat
	.globl	_ZN9rocsparseL27csrsv_analysis_upper_kernelILj1024ELj64ELb0EiiEEvT3_PKT2_PKS1_PS2_PiS7_PS1_21rocsparse_index_base_20rocsparse_diag_type_ ; -- Begin function _ZN9rocsparseL27csrsv_analysis_upper_kernelILj1024ELj64ELb0EiiEEvT3_PKT2_PKS1_PS2_PiS7_PS1_21rocsparse_index_base_20rocsparse_diag_type_
	.p2align	8
	.type	_ZN9rocsparseL27csrsv_analysis_upper_kernelILj1024ELj64ELb0EiiEEvT3_PKT2_PKS1_PS2_PiS7_PS1_21rocsparse_index_base_20rocsparse_diag_type_,@function
_ZN9rocsparseL27csrsv_analysis_upper_kernelILj1024ELj64ELb0EiiEEvT3_PKT2_PKS1_PS2_PiS7_PS1_21rocsparse_index_base_20rocsparse_diag_type_: ; @_ZN9rocsparseL27csrsv_analysis_upper_kernelILj1024ELj64ELb0EiiEEvT3_PKT2_PKS1_PS2_PiS7_PS1_21rocsparse_index_base_20rocsparse_diag_type_
; %bb.0:
	s_load_dword s28, s[4:5], 0x0
	s_lshl_b32 s29, s6, 4
	s_not_b32 s0, s29
	v_lshrrev_b32_e32 v2, 6, v0
	v_lshlrev_b32_e32 v8, 2, v2
	s_waitcnt lgkmcnt(0)
	s_add_i32 s30, s28, s0
	v_sub_u32_e32 v1, s30, v2
	v_mov_b32_e32 v2, 0
	v_cmp_lt_i32_e32 vcc, -1, v1
	ds_write_b32 v8, v2
	s_waitcnt lgkmcnt(0)
	s_barrier
	s_and_saveexec_b64 s[0:1], vcc
	s_cbranch_execz .LBB4_33
; %bb.1:
	s_load_dwordx2 s[0:1], s[4:5], 0x8
	s_load_dwordx4 s[8:11], s[4:5], 0x18
	v_and_b32_e32 v0, 63, v0
	v_lshlrev_b64 v[2:3], 2, v[1:2]
	v_cmp_eq_u32_e32 vcc, 0, v0
	s_and_saveexec_b64 s[2:3], vcc
	s_cbranch_execz .LBB4_3
; %bb.2:
	s_waitcnt lgkmcnt(0)
	v_mov_b32_e32 v5, s9
	v_add_co_u32_e32 v4, vcc, s8, v2
	v_addc_co_u32_e32 v5, vcc, v5, v3, vcc
	v_mov_b32_e32 v6, -1
	global_store_dword v[4:5], v6, off
.LBB4_3:
	s_or_b64 exec, exec, s[2:3]
	s_waitcnt lgkmcnt(0)
	v_mov_b32_e32 v5, s1
	v_add_co_u32_e32 v4, vcc, s0, v2
	v_addc_co_u32_e32 v5, vcc, v5, v3, vcc
	global_load_dwordx2 v[4:5], v[4:5], off
	s_load_dwordx2 s[6:7], s[4:5], 0x38
	s_load_dwordx4 s[0:3], s[4:5], 0x28
	v_mov_b32_e32 v6, 0
	s_waitcnt vmcnt(0) lgkmcnt(0)
	v_subrev_u32_e32 v10, s6, v5
	v_subrev_u32_e32 v9, s6, v4
	v_xad_u32 v7, v0, -1, v10
	v_cmp_ge_i32_e32 vcc, v7, v9
	s_and_saveexec_b64 s[12:13], vcc
	s_cbranch_execz .LBB4_23
; %bb.4:
	s_load_dwordx2 s[4:5], s[4:5], 0x10
	v_mov_b32_e32 v6, 0
	s_mov_b64 s[14:15], 0
                                        ; implicit-def: $sgpr16_sgpr17
                                        ; implicit-def: $sgpr20_sgpr21
                                        ; implicit-def: $sgpr18_sgpr19
	s_waitcnt lgkmcnt(0)
	v_mov_b32_e32 v12, s5
	s_branch .LBB4_7
.LBB4_5:                                ;   in Loop: Header=BB4_7 Depth=1
	s_or_b64 exec, exec, s[24:25]
	v_subrev_u32_e32 v7, 64, v4
	v_cmp_lt_i32_e32 vcc, v7, v9
	s_andn2_b64 s[20:21], s[20:21], exec
	s_and_b64 s[24:25], vcc, exec
	v_max_i32_e32 v6, v13, v11
	s_andn2_b64 s[18:19], s[18:19], exec
	s_or_b64 s[20:21], s[20:21], s[24:25]
.LBB4_6:                                ;   in Loop: Header=BB4_7 Depth=1
	s_or_b64 exec, exec, s[22:23]
	s_and_b64 s[22:23], exec, s[20:21]
	s_or_b64 s[14:15], s[22:23], s[14:15]
	s_andn2_b64 s[16:17], s[16:17], exec
	s_and_b64 s[22:23], s[18:19], exec
	s_or_b64 s[16:17], s[16:17], s[22:23]
	s_andn2_b64 exec, exec, s[14:15]
	s_cbranch_execz .LBB4_12
.LBB4_7:                                ; =>This Loop Header: Depth=1
                                        ;     Child Loop BB4_10 Depth 2
	v_mov_b32_e32 v4, v7
	v_ashrrev_i32_e32 v5, 31, v4
	v_lshlrev_b64 v[13:14], 2, v[4:5]
	v_mov_b32_e32 v11, v6
	v_add_co_u32_e32 v13, vcc, s4, v13
	v_addc_co_u32_e32 v14, vcc, v12, v14, vcc
	global_load_dword v5, v[13:14], off glc slc
	s_or_b64 s[18:19], s[18:19], exec
	s_or_b64 s[20:21], s[20:21], exec
                                        ; implicit-def: $vgpr7
                                        ; implicit-def: $vgpr6
	s_waitcnt vmcnt(0)
	v_subrev_u32_e32 v5, s6, v5
	v_cmp_lt_i32_e32 vcc, s30, v5
	s_and_saveexec_b64 s[22:23], vcc
	s_cbranch_execz .LBB4_6
; %bb.8:                                ;   in Loop: Header=BB4_7 Depth=1
	v_ashrrev_i32_e32 v6, 31, v5
	v_lshlrev_b64 v[6:7], 2, v[5:6]
	v_mov_b32_e32 v13, s11
	v_add_co_u32_e32 v6, vcc, s10, v6
	v_addc_co_u32_e32 v7, vcc, v13, v7, vcc
	global_load_dword v13, v[6:7], off glc
	s_waitcnt vmcnt(0)
	v_cmp_eq_u32_e32 vcc, 0, v13
	s_and_saveexec_b64 s[24:25], vcc
	s_cbranch_execz .LBB4_5
; %bb.9:                                ;   in Loop: Header=BB4_7 Depth=1
	s_mov_b64 s[26:27], 0
.LBB4_10:                               ;   Parent Loop BB4_7 Depth=1
                                        ; =>  This Inner Loop Header: Depth=2
	global_load_dword v13, v[6:7], off glc
	s_waitcnt vmcnt(0)
	v_cmp_ne_u32_e32 vcc, 0, v13
	s_or_b64 s[26:27], vcc, s[26:27]
	s_andn2_b64 exec, exec, s[26:27]
	s_cbranch_execnz .LBB4_10
; %bb.11:                               ;   in Loop: Header=BB4_7 Depth=1
	s_or_b64 exec, exec, s[26:27]
	s_branch .LBB4_5
.LBB4_12:
	s_or_b64 exec, exec, s[14:15]
	s_and_saveexec_b64 s[4:5], s[16:17]
	s_xor_b64 s[4:5], exec, s[4:5]
	s_cbranch_execz .LBB4_22
; %bb.13:
	v_cmp_eq_u32_e32 vcc, v5, v1
	s_and_saveexec_b64 s[14:15], vcc
	s_cbranch_execz .LBB4_15
; %bb.14:
	v_mov_b32_e32 v7, s9
	v_add_co_u32_e32 v6, vcc, s8, v2
	v_addc_co_u32_e32 v7, vcc, v7, v3, vcc
	global_store_dword v[6:7], v4, off
.LBB4_15:
	s_or_b64 exec, exec, s[14:15]
	v_cmp_gt_i32_e32 vcc, v5, v1
	s_and_saveexec_b64 s[14:15], vcc
	s_cbranch_execz .LBB4_21
; %bb.16:
	s_xor_b32 s16, s29, 0x3ffffff0
	s_add_i32 s28, s28, s16
	v_sub_u32_e32 v4, s28, v5
	v_lshlrev_b32_e32 v5, 2, v4
	ds_read_b32 v4, v5 offset:60
	s_waitcnt lgkmcnt(0)
	v_cmp_eq_u32_e32 vcc, 0, v4
	s_and_saveexec_b64 s[16:17], vcc
	s_cbranch_execz .LBB4_20
; %bb.17:
	s_mov_b64 s[18:19], 0
.LBB4_18:                               ; =>This Inner Loop Header: Depth=1
	ds_read_b32 v4, v5 offset:60
	s_waitcnt lgkmcnt(0)
	v_cmp_ne_u32_e32 vcc, 0, v4
	s_or_b64 s[18:19], vcc, s[18:19]
	s_andn2_b64 exec, exec, s[18:19]
	s_cbranch_execnz .LBB4_18
; %bb.19:
	s_or_b64 exec, exec, s[18:19]
.LBB4_20:
	s_or_b64 exec, exec, s[16:17]
	v_max_i32_e32 v11, v4, v11
.LBB4_21:
	s_or_b64 exec, exec, s[14:15]
	v_mov_b32_e32 v6, v11
.LBB4_22:
	s_or_b64 exec, exec, s[4:5]
.LBB4_23:
	s_or_b64 exec, exec, s[12:13]
	v_mov_b32_dpp v4, v6 row_shr:1 row_mask:0xf bank_mask:0xf
	v_max_i32_e32 v4, v6, v4
	v_cmp_eq_u32_e32 vcc, 63, v0
	s_nop 0
	v_mov_b32_dpp v5, v4 row_shr:2 row_mask:0xf bank_mask:0xf
	v_max_i32_e32 v4, v4, v5
	s_nop 1
	v_mov_b32_dpp v5, v4 row_shr:4 row_mask:0xf bank_mask:0xe
	v_max_i32_e32 v4, v4, v5
	;; [unrolled: 3-line block ×3, first 2 shown]
	s_nop 1
	v_mov_b32_dpp v5, v4 row_bcast:15 row_mask:0xa bank_mask:0xf
	v_max_i32_e32 v4, v4, v5
	s_nop 1
	v_mov_b32_dpp v5, v4 row_bcast:31 row_mask:0xc bank_mask:0xf
	s_and_b64 exec, exec, vcc
	s_cbranch_execz .LBB4_33
; %bb.24:
	v_max_i32_e32 v0, v4, v5
	v_mov_b32_e32 v5, s11
	v_add_co_u32_e32 v4, vcc, s10, v2
	v_add_u32_e32 v0, 1, v0
	v_addc_co_u32_e32 v5, vcc, v5, v3, vcc
	s_mov_b64 s[4:5], exec
	ds_write_b32 v8, v0
	global_store_dword v[4:5], v0, off
	v_sub_u32_e32 v0, v10, v9
	s_brev_b32 s10, 1
.LBB4_25:                               ; =>This Inner Loop Header: Depth=1
	s_ff1_i32_b64 s11, s[4:5]
	v_readlane_b32 s14, v0, s11
	s_lshl_b64 s[12:13], 1, s11
	s_max_i32 s10, s10, s14
	s_andn2_b64 s[4:5], s[4:5], s[12:13]
	s_cmp_lg_u64 s[4:5], 0
	s_cbranch_scc1 .LBB4_25
; %bb.26:
	v_mbcnt_lo_u32_b32 v0, exec_lo, 0
	v_mbcnt_hi_u32_b32 v0, exec_hi, v0
	v_cmp_eq_u32_e32 vcc, 0, v0
	s_and_saveexec_b64 s[4:5], vcc
	s_xor_b64 s[4:5], exec, s[4:5]
	s_cbranch_execz .LBB4_28
; %bb.27:
	v_mov_b32_e32 v0, 0
	v_mov_b32_e32 v4, s10
	global_atomic_smax v0, v4, s[0:1]
.LBB4_28:
	s_or_b64 exec, exec, s[4:5]
	v_mov_b32_e32 v0, s9
	v_add_co_u32_e32 v2, vcc, s8, v2
	v_addc_co_u32_e32 v3, vcc, v0, v3, vcc
	global_load_dword v0, v[2:3], off
	s_cmp_eq_u32 s7, 0
	s_cselect_b64 s[0:1], -1, 0
	s_waitcnt vmcnt(0)
	v_cmp_eq_u32_e32 vcc, -1, v0
	s_and_b64 s[0:1], s[0:1], vcc
	s_and_b64 exec, exec, s[0:1]
	s_cbranch_execz .LBB4_33
; %bb.29:
	s_mov_b64 s[0:1], exec
	v_add_u32_e32 v0, s6, v1
	s_brev_b32 s4, -2
.LBB4_30:                               ; =>This Inner Loop Header: Depth=1
	s_ff1_i32_b64 s5, s[0:1]
	v_readlane_b32 s8, v0, s5
	s_lshl_b64 s[6:7], 1, s5
	s_min_i32 s4, s4, s8
	s_andn2_b64 s[0:1], s[0:1], s[6:7]
	s_cmp_lg_u64 s[0:1], 0
	s_cbranch_scc1 .LBB4_30
; %bb.31:
	v_mbcnt_lo_u32_b32 v0, exec_lo, 0
	v_mbcnt_hi_u32_b32 v0, exec_hi, v0
	v_cmp_eq_u32_e32 vcc, 0, v0
	s_and_saveexec_b64 s[0:1], vcc
	s_xor_b64 s[0:1], exec, s[0:1]
	s_cbranch_execz .LBB4_33
; %bb.32:
	v_mov_b32_e32 v0, 0
	v_mov_b32_e32 v1, s4
	global_atomic_smin v0, v1, s[2:3]
.LBB4_33:
	s_endpgm
	.section	.rodata,"a",@progbits
	.p2align	6, 0x0
	.amdhsa_kernel _ZN9rocsparseL27csrsv_analysis_upper_kernelILj1024ELj64ELb0EiiEEvT3_PKT2_PKS1_PS2_PiS7_PS1_21rocsparse_index_base_20rocsparse_diag_type_
		.amdhsa_group_segment_fixed_size 64
		.amdhsa_private_segment_fixed_size 0
		.amdhsa_kernarg_size 64
		.amdhsa_user_sgpr_count 6
		.amdhsa_user_sgpr_private_segment_buffer 1
		.amdhsa_user_sgpr_dispatch_ptr 0
		.amdhsa_user_sgpr_queue_ptr 0
		.amdhsa_user_sgpr_kernarg_segment_ptr 1
		.amdhsa_user_sgpr_dispatch_id 0
		.amdhsa_user_sgpr_flat_scratch_init 0
		.amdhsa_user_sgpr_private_segment_size 0
		.amdhsa_uses_dynamic_stack 0
		.amdhsa_system_sgpr_private_segment_wavefront_offset 0
		.amdhsa_system_sgpr_workgroup_id_x 1
		.amdhsa_system_sgpr_workgroup_id_y 0
		.amdhsa_system_sgpr_workgroup_id_z 0
		.amdhsa_system_sgpr_workgroup_info 0
		.amdhsa_system_vgpr_workitem_id 0
		.amdhsa_next_free_vgpr 15
		.amdhsa_next_free_sgpr 31
		.amdhsa_reserve_vcc 1
		.amdhsa_reserve_flat_scratch 0
		.amdhsa_float_round_mode_32 0
		.amdhsa_float_round_mode_16_64 0
		.amdhsa_float_denorm_mode_32 3
		.amdhsa_float_denorm_mode_16_64 3
		.amdhsa_dx10_clamp 1
		.amdhsa_ieee_mode 1
		.amdhsa_fp16_overflow 0
		.amdhsa_exception_fp_ieee_invalid_op 0
		.amdhsa_exception_fp_denorm_src 0
		.amdhsa_exception_fp_ieee_div_zero 0
		.amdhsa_exception_fp_ieee_overflow 0
		.amdhsa_exception_fp_ieee_underflow 0
		.amdhsa_exception_fp_ieee_inexact 0
		.amdhsa_exception_int_div_zero 0
	.end_amdhsa_kernel
	.section	.text._ZN9rocsparseL27csrsv_analysis_upper_kernelILj1024ELj64ELb0EiiEEvT3_PKT2_PKS1_PS2_PiS7_PS1_21rocsparse_index_base_20rocsparse_diag_type_,"axG",@progbits,_ZN9rocsparseL27csrsv_analysis_upper_kernelILj1024ELj64ELb0EiiEEvT3_PKT2_PKS1_PS2_PiS7_PS1_21rocsparse_index_base_20rocsparse_diag_type_,comdat
.Lfunc_end4:
	.size	_ZN9rocsparseL27csrsv_analysis_upper_kernelILj1024ELj64ELb0EiiEEvT3_PKT2_PKS1_PS2_PiS7_PS1_21rocsparse_index_base_20rocsparse_diag_type_, .Lfunc_end4-_ZN9rocsparseL27csrsv_analysis_upper_kernelILj1024ELj64ELb0EiiEEvT3_PKT2_PKS1_PS2_PiS7_PS1_21rocsparse_index_base_20rocsparse_diag_type_
                                        ; -- End function
	.set _ZN9rocsparseL27csrsv_analysis_upper_kernelILj1024ELj64ELb0EiiEEvT3_PKT2_PKS1_PS2_PiS7_PS1_21rocsparse_index_base_20rocsparse_diag_type_.num_vgpr, 15
	.set _ZN9rocsparseL27csrsv_analysis_upper_kernelILj1024ELj64ELb0EiiEEvT3_PKT2_PKS1_PS2_PiS7_PS1_21rocsparse_index_base_20rocsparse_diag_type_.num_agpr, 0
	.set _ZN9rocsparseL27csrsv_analysis_upper_kernelILj1024ELj64ELb0EiiEEvT3_PKT2_PKS1_PS2_PiS7_PS1_21rocsparse_index_base_20rocsparse_diag_type_.numbered_sgpr, 31
	.set _ZN9rocsparseL27csrsv_analysis_upper_kernelILj1024ELj64ELb0EiiEEvT3_PKT2_PKS1_PS2_PiS7_PS1_21rocsparse_index_base_20rocsparse_diag_type_.num_named_barrier, 0
	.set _ZN9rocsparseL27csrsv_analysis_upper_kernelILj1024ELj64ELb0EiiEEvT3_PKT2_PKS1_PS2_PiS7_PS1_21rocsparse_index_base_20rocsparse_diag_type_.private_seg_size, 0
	.set _ZN9rocsparseL27csrsv_analysis_upper_kernelILj1024ELj64ELb0EiiEEvT3_PKT2_PKS1_PS2_PiS7_PS1_21rocsparse_index_base_20rocsparse_diag_type_.uses_vcc, 1
	.set _ZN9rocsparseL27csrsv_analysis_upper_kernelILj1024ELj64ELb0EiiEEvT3_PKT2_PKS1_PS2_PiS7_PS1_21rocsparse_index_base_20rocsparse_diag_type_.uses_flat_scratch, 0
	.set _ZN9rocsparseL27csrsv_analysis_upper_kernelILj1024ELj64ELb0EiiEEvT3_PKT2_PKS1_PS2_PiS7_PS1_21rocsparse_index_base_20rocsparse_diag_type_.has_dyn_sized_stack, 0
	.set _ZN9rocsparseL27csrsv_analysis_upper_kernelILj1024ELj64ELb0EiiEEvT3_PKT2_PKS1_PS2_PiS7_PS1_21rocsparse_index_base_20rocsparse_diag_type_.has_recursion, 0
	.set _ZN9rocsparseL27csrsv_analysis_upper_kernelILj1024ELj64ELb0EiiEEvT3_PKT2_PKS1_PS2_PiS7_PS1_21rocsparse_index_base_20rocsparse_diag_type_.has_indirect_call, 0
	.section	.AMDGPU.csdata,"",@progbits
; Kernel info:
; codeLenInByte = 1004
; TotalNumSgprs: 35
; NumVgprs: 15
; ScratchSize: 0
; MemoryBound: 0
; FloatMode: 240
; IeeeMode: 1
; LDSByteSize: 64 bytes/workgroup (compile time only)
; SGPRBlocks: 4
; VGPRBlocks: 3
; NumSGPRsForWavesPerEU: 35
; NumVGPRsForWavesPerEU: 15
; Occupancy: 10
; WaveLimiterHint : 1
; COMPUTE_PGM_RSRC2:SCRATCH_EN: 0
; COMPUTE_PGM_RSRC2:USER_SGPR: 6
; COMPUTE_PGM_RSRC2:TRAP_HANDLER: 0
; COMPUTE_PGM_RSRC2:TGID_X_EN: 1
; COMPUTE_PGM_RSRC2:TGID_Y_EN: 0
; COMPUTE_PGM_RSRC2:TGID_Z_EN: 0
; COMPUTE_PGM_RSRC2:TIDIG_COMP_CNT: 0
	.section	.text._ZN9rocsparseL27csrsv_analysis_lower_kernelILj1024ELj64ELb0EiiEEvT3_PKT2_PKS1_PS2_PiS7_PS1_21rocsparse_index_base_20rocsparse_diag_type_,"axG",@progbits,_ZN9rocsparseL27csrsv_analysis_lower_kernelILj1024ELj64ELb0EiiEEvT3_PKT2_PKS1_PS2_PiS7_PS1_21rocsparse_index_base_20rocsparse_diag_type_,comdat
	.globl	_ZN9rocsparseL27csrsv_analysis_lower_kernelILj1024ELj64ELb0EiiEEvT3_PKT2_PKS1_PS2_PiS7_PS1_21rocsparse_index_base_20rocsparse_diag_type_ ; -- Begin function _ZN9rocsparseL27csrsv_analysis_lower_kernelILj1024ELj64ELb0EiiEEvT3_PKT2_PKS1_PS2_PiS7_PS1_21rocsparse_index_base_20rocsparse_diag_type_
	.p2align	8
	.type	_ZN9rocsparseL27csrsv_analysis_lower_kernelILj1024ELj64ELb0EiiEEvT3_PKT2_PKS1_PS2_PiS7_PS1_21rocsparse_index_base_20rocsparse_diag_type_,@function
_ZN9rocsparseL27csrsv_analysis_lower_kernelILj1024ELj64ELb0EiiEEvT3_PKT2_PKS1_PS2_PiS7_PS1_21rocsparse_index_base_20rocsparse_diag_type_: ; @_ZN9rocsparseL27csrsv_analysis_lower_kernelILj1024ELj64ELb0EiiEEvT3_PKT2_PKS1_PS2_PiS7_PS1_21rocsparse_index_base_20rocsparse_diag_type_
; %bb.0:
	s_load_dword s0, s[4:5], 0x0
	v_lshrrev_b32_e32 v2, 6, v0
	s_lshl_b32 s28, s6, 4
	v_or_b32_e32 v1, s28, v2
	v_lshlrev_b32_e32 v8, 2, v2
	v_mov_b32_e32 v2, 0
	s_waitcnt lgkmcnt(0)
	v_cmp_gt_i32_e32 vcc, s0, v1
	ds_write_b32 v8, v2
	s_waitcnt lgkmcnt(0)
	s_barrier
	s_and_saveexec_b64 s[0:1], vcc
	s_cbranch_execz .LBB5_33
; %bb.1:
	s_load_dwordx2 s[0:1], s[4:5], 0x8
	s_load_dwordx4 s[8:11], s[4:5], 0x18
	v_ashrrev_i32_e32 v2, 31, v1
	v_and_b32_e32 v0, 63, v0
	v_lshlrev_b64 v[2:3], 2, v[1:2]
	v_cmp_eq_u32_e32 vcc, 0, v0
	s_and_saveexec_b64 s[2:3], vcc
	s_cbranch_execz .LBB5_3
; %bb.2:
	s_waitcnt lgkmcnt(0)
	v_mov_b32_e32 v5, s9
	v_add_co_u32_e32 v4, vcc, s8, v2
	v_addc_co_u32_e32 v5, vcc, v5, v3, vcc
	v_mov_b32_e32 v6, -1
	global_store_dword v[4:5], v6, off
.LBB5_3:
	s_or_b64 exec, exec, s[2:3]
	s_waitcnt lgkmcnt(0)
	v_mov_b32_e32 v5, s1
	v_add_co_u32_e32 v4, vcc, s0, v2
	v_addc_co_u32_e32 v5, vcc, v5, v3, vcc
	global_load_dwordx2 v[4:5], v[4:5], off
	s_load_dwordx2 s[6:7], s[4:5], 0x38
	s_load_dwordx4 s[0:3], s[4:5], 0x28
	v_mov_b32_e32 v6, 0
	s_waitcnt vmcnt(0) lgkmcnt(0)
	v_subrev_u32_e32 v9, s6, v4
	v_subrev_u32_e32 v10, s6, v5
	v_add_u32_e32 v7, v9, v0
	v_cmp_lt_i32_e32 vcc, v7, v10
	s_and_saveexec_b64 s[12:13], vcc
	s_cbranch_execz .LBB5_23
; %bb.4:
	s_load_dwordx2 s[4:5], s[4:5], 0x10
	v_mov_b32_e32 v6, 0
	s_mov_b64 s[14:15], 0
                                        ; implicit-def: $sgpr16_sgpr17
                                        ; implicit-def: $sgpr20_sgpr21
                                        ; implicit-def: $sgpr18_sgpr19
	s_waitcnt lgkmcnt(0)
	v_mov_b32_e32 v12, s5
	s_branch .LBB5_7
.LBB5_5:                                ;   in Loop: Header=BB5_7 Depth=1
	s_or_b64 exec, exec, s[24:25]
	v_add_u32_e32 v7, 64, v4
	v_cmp_ge_i32_e32 vcc, v7, v10
	s_andn2_b64 s[20:21], s[20:21], exec
	s_and_b64 s[24:25], vcc, exec
	v_max_i32_e32 v6, v13, v11
	s_andn2_b64 s[18:19], s[18:19], exec
	s_or_b64 s[20:21], s[20:21], s[24:25]
.LBB5_6:                                ;   in Loop: Header=BB5_7 Depth=1
	s_or_b64 exec, exec, s[22:23]
	s_and_b64 s[22:23], exec, s[20:21]
	s_or_b64 s[14:15], s[22:23], s[14:15]
	s_andn2_b64 s[16:17], s[16:17], exec
	s_and_b64 s[22:23], s[18:19], exec
	s_or_b64 s[16:17], s[16:17], s[22:23]
	s_andn2_b64 exec, exec, s[14:15]
	s_cbranch_execz .LBB5_12
.LBB5_7:                                ; =>This Loop Header: Depth=1
                                        ;     Child Loop BB5_10 Depth 2
	v_mov_b32_e32 v4, v7
	v_ashrrev_i32_e32 v5, 31, v4
	v_lshlrev_b64 v[13:14], 2, v[4:5]
	v_mov_b32_e32 v11, v6
	v_add_co_u32_e32 v13, vcc, s4, v13
	v_addc_co_u32_e32 v14, vcc, v12, v14, vcc
	global_load_dword v5, v[13:14], off glc slc
	s_or_b64 s[18:19], s[18:19], exec
	s_or_b64 s[20:21], s[20:21], exec
                                        ; implicit-def: $vgpr7
                                        ; implicit-def: $vgpr6
	s_waitcnt vmcnt(0)
	v_subrev_u32_e32 v5, s6, v5
	v_cmp_gt_i32_e32 vcc, s28, v5
	s_and_saveexec_b64 s[22:23], vcc
	s_cbranch_execz .LBB5_6
; %bb.8:                                ;   in Loop: Header=BB5_7 Depth=1
	v_ashrrev_i32_e32 v6, 31, v5
	v_lshlrev_b64 v[6:7], 2, v[5:6]
	v_mov_b32_e32 v13, s11
	v_add_co_u32_e32 v6, vcc, s10, v6
	v_addc_co_u32_e32 v7, vcc, v13, v7, vcc
	global_load_dword v13, v[6:7], off glc
	s_waitcnt vmcnt(0)
	v_cmp_eq_u32_e32 vcc, 0, v13
	s_and_saveexec_b64 s[24:25], vcc
	s_cbranch_execz .LBB5_5
; %bb.9:                                ;   in Loop: Header=BB5_7 Depth=1
	s_mov_b64 s[26:27], 0
.LBB5_10:                               ;   Parent Loop BB5_7 Depth=1
                                        ; =>  This Inner Loop Header: Depth=2
	global_load_dword v13, v[6:7], off glc
	s_waitcnt vmcnt(0)
	v_cmp_ne_u32_e32 vcc, 0, v13
	s_or_b64 s[26:27], vcc, s[26:27]
	s_andn2_b64 exec, exec, s[26:27]
	s_cbranch_execnz .LBB5_10
; %bb.11:                               ;   in Loop: Header=BB5_7 Depth=1
	s_or_b64 exec, exec, s[26:27]
	s_branch .LBB5_5
.LBB5_12:
	s_or_b64 exec, exec, s[14:15]
	s_and_saveexec_b64 s[4:5], s[16:17]
	s_xor_b64 s[4:5], exec, s[4:5]
	s_cbranch_execz .LBB5_22
; %bb.13:
	v_cmp_eq_u32_e32 vcc, v5, v1
	s_and_saveexec_b64 s[14:15], vcc
	s_cbranch_execz .LBB5_15
; %bb.14:
	v_mov_b32_e32 v7, s9
	v_add_co_u32_e32 v6, vcc, s8, v2
	v_addc_co_u32_e32 v7, vcc, v7, v3, vcc
	global_store_dword v[6:7], v4, off
.LBB5_15:
	s_or_b64 exec, exec, s[14:15]
	v_cmp_lt_i32_e32 vcc, v5, v1
	s_and_saveexec_b64 s[14:15], vcc
	s_cbranch_execz .LBB5_21
; %bb.16:
	v_subrev_u32_e32 v4, s28, v5
	v_lshlrev_b32_e32 v5, 2, v4
	ds_read_b32 v4, v5
	s_waitcnt lgkmcnt(0)
	v_cmp_eq_u32_e32 vcc, 0, v4
	s_and_saveexec_b64 s[16:17], vcc
	s_cbranch_execz .LBB5_20
; %bb.17:
	s_mov_b64 s[18:19], 0
.LBB5_18:                               ; =>This Inner Loop Header: Depth=1
	ds_read_b32 v4, v5
	s_waitcnt lgkmcnt(0)
	v_cmp_ne_u32_e32 vcc, 0, v4
	s_or_b64 s[18:19], vcc, s[18:19]
	s_andn2_b64 exec, exec, s[18:19]
	s_cbranch_execnz .LBB5_18
; %bb.19:
	s_or_b64 exec, exec, s[18:19]
.LBB5_20:
	s_or_b64 exec, exec, s[16:17]
	v_max_i32_e32 v11, v4, v11
.LBB5_21:
	s_or_b64 exec, exec, s[14:15]
	v_mov_b32_e32 v6, v11
.LBB5_22:
	s_or_b64 exec, exec, s[4:5]
.LBB5_23:
	s_or_b64 exec, exec, s[12:13]
	v_mov_b32_dpp v4, v6 row_shr:1 row_mask:0xf bank_mask:0xf
	v_max_i32_e32 v4, v6, v4
	v_cmp_eq_u32_e32 vcc, 63, v0
	s_nop 0
	v_mov_b32_dpp v5, v4 row_shr:2 row_mask:0xf bank_mask:0xf
	v_max_i32_e32 v4, v4, v5
	s_nop 1
	v_mov_b32_dpp v5, v4 row_shr:4 row_mask:0xf bank_mask:0xe
	v_max_i32_e32 v4, v4, v5
	;; [unrolled: 3-line block ×3, first 2 shown]
	s_nop 1
	v_mov_b32_dpp v5, v4 row_bcast:15 row_mask:0xa bank_mask:0xf
	v_max_i32_e32 v4, v4, v5
	s_nop 1
	v_mov_b32_dpp v5, v4 row_bcast:31 row_mask:0xc bank_mask:0xf
	s_and_b64 exec, exec, vcc
	s_cbranch_execz .LBB5_33
; %bb.24:
	v_max_i32_e32 v0, v4, v5
	v_mov_b32_e32 v5, s11
	v_add_co_u32_e32 v4, vcc, s10, v2
	v_add_u32_e32 v0, 1, v0
	v_addc_co_u32_e32 v5, vcc, v5, v3, vcc
	s_mov_b64 s[4:5], exec
	ds_write_b32 v8, v0
	global_store_dword v[4:5], v0, off
	v_sub_u32_e32 v0, v10, v9
	s_brev_b32 s10, 1
.LBB5_25:                               ; =>This Inner Loop Header: Depth=1
	s_ff1_i32_b64 s11, s[4:5]
	v_readlane_b32 s14, v0, s11
	s_lshl_b64 s[12:13], 1, s11
	s_max_i32 s10, s10, s14
	s_andn2_b64 s[4:5], s[4:5], s[12:13]
	s_cmp_lg_u64 s[4:5], 0
	s_cbranch_scc1 .LBB5_25
; %bb.26:
	v_mbcnt_lo_u32_b32 v0, exec_lo, 0
	v_mbcnt_hi_u32_b32 v0, exec_hi, v0
	v_cmp_eq_u32_e32 vcc, 0, v0
	s_and_saveexec_b64 s[4:5], vcc
	s_xor_b64 s[4:5], exec, s[4:5]
	s_cbranch_execz .LBB5_28
; %bb.27:
	v_mov_b32_e32 v0, 0
	v_mov_b32_e32 v4, s10
	global_atomic_smax v0, v4, s[0:1]
.LBB5_28:
	s_or_b64 exec, exec, s[4:5]
	v_mov_b32_e32 v0, s9
	v_add_co_u32_e32 v2, vcc, s8, v2
	v_addc_co_u32_e32 v3, vcc, v0, v3, vcc
	global_load_dword v0, v[2:3], off
	s_cmp_eq_u32 s7, 0
	s_cselect_b64 s[0:1], -1, 0
	s_waitcnt vmcnt(0)
	v_cmp_eq_u32_e32 vcc, -1, v0
	s_and_b64 s[0:1], s[0:1], vcc
	s_and_b64 exec, exec, s[0:1]
	s_cbranch_execz .LBB5_33
; %bb.29:
	s_mov_b64 s[0:1], exec
	v_add_u32_e32 v0, s6, v1
	s_brev_b32 s4, -2
.LBB5_30:                               ; =>This Inner Loop Header: Depth=1
	s_ff1_i32_b64 s5, s[0:1]
	v_readlane_b32 s8, v0, s5
	s_lshl_b64 s[6:7], 1, s5
	s_min_i32 s4, s4, s8
	s_andn2_b64 s[0:1], s[0:1], s[6:7]
	s_cmp_lg_u64 s[0:1], 0
	s_cbranch_scc1 .LBB5_30
; %bb.31:
	v_mbcnt_lo_u32_b32 v0, exec_lo, 0
	v_mbcnt_hi_u32_b32 v0, exec_hi, v0
	v_cmp_eq_u32_e32 vcc, 0, v0
	s_and_saveexec_b64 s[0:1], vcc
	s_xor_b64 s[0:1], exec, s[0:1]
	s_cbranch_execz .LBB5_33
; %bb.32:
	v_mov_b32_e32 v0, 0
	v_mov_b32_e32 v1, s4
	global_atomic_smin v0, v1, s[2:3]
.LBB5_33:
	s_endpgm
	.section	.rodata,"a",@progbits
	.p2align	6, 0x0
	.amdhsa_kernel _ZN9rocsparseL27csrsv_analysis_lower_kernelILj1024ELj64ELb0EiiEEvT3_PKT2_PKS1_PS2_PiS7_PS1_21rocsparse_index_base_20rocsparse_diag_type_
		.amdhsa_group_segment_fixed_size 64
		.amdhsa_private_segment_fixed_size 0
		.amdhsa_kernarg_size 64
		.amdhsa_user_sgpr_count 6
		.amdhsa_user_sgpr_private_segment_buffer 1
		.amdhsa_user_sgpr_dispatch_ptr 0
		.amdhsa_user_sgpr_queue_ptr 0
		.amdhsa_user_sgpr_kernarg_segment_ptr 1
		.amdhsa_user_sgpr_dispatch_id 0
		.amdhsa_user_sgpr_flat_scratch_init 0
		.amdhsa_user_sgpr_private_segment_size 0
		.amdhsa_uses_dynamic_stack 0
		.amdhsa_system_sgpr_private_segment_wavefront_offset 0
		.amdhsa_system_sgpr_workgroup_id_x 1
		.amdhsa_system_sgpr_workgroup_id_y 0
		.amdhsa_system_sgpr_workgroup_id_z 0
		.amdhsa_system_sgpr_workgroup_info 0
		.amdhsa_system_vgpr_workitem_id 0
		.amdhsa_next_free_vgpr 15
		.amdhsa_next_free_sgpr 29
		.amdhsa_reserve_vcc 1
		.amdhsa_reserve_flat_scratch 0
		.amdhsa_float_round_mode_32 0
		.amdhsa_float_round_mode_16_64 0
		.amdhsa_float_denorm_mode_32 3
		.amdhsa_float_denorm_mode_16_64 3
		.amdhsa_dx10_clamp 1
		.amdhsa_ieee_mode 1
		.amdhsa_fp16_overflow 0
		.amdhsa_exception_fp_ieee_invalid_op 0
		.amdhsa_exception_fp_denorm_src 0
		.amdhsa_exception_fp_ieee_div_zero 0
		.amdhsa_exception_fp_ieee_overflow 0
		.amdhsa_exception_fp_ieee_underflow 0
		.amdhsa_exception_fp_ieee_inexact 0
		.amdhsa_exception_int_div_zero 0
	.end_amdhsa_kernel
	.section	.text._ZN9rocsparseL27csrsv_analysis_lower_kernelILj1024ELj64ELb0EiiEEvT3_PKT2_PKS1_PS2_PiS7_PS1_21rocsparse_index_base_20rocsparse_diag_type_,"axG",@progbits,_ZN9rocsparseL27csrsv_analysis_lower_kernelILj1024ELj64ELb0EiiEEvT3_PKT2_PKS1_PS2_PiS7_PS1_21rocsparse_index_base_20rocsparse_diag_type_,comdat
.Lfunc_end5:
	.size	_ZN9rocsparseL27csrsv_analysis_lower_kernelILj1024ELj64ELb0EiiEEvT3_PKT2_PKS1_PS2_PiS7_PS1_21rocsparse_index_base_20rocsparse_diag_type_, .Lfunc_end5-_ZN9rocsparseL27csrsv_analysis_lower_kernelILj1024ELj64ELb0EiiEEvT3_PKT2_PKS1_PS2_PiS7_PS1_21rocsparse_index_base_20rocsparse_diag_type_
                                        ; -- End function
	.set _ZN9rocsparseL27csrsv_analysis_lower_kernelILj1024ELj64ELb0EiiEEvT3_PKT2_PKS1_PS2_PiS7_PS1_21rocsparse_index_base_20rocsparse_diag_type_.num_vgpr, 15
	.set _ZN9rocsparseL27csrsv_analysis_lower_kernelILj1024ELj64ELb0EiiEEvT3_PKT2_PKS1_PS2_PiS7_PS1_21rocsparse_index_base_20rocsparse_diag_type_.num_agpr, 0
	.set _ZN9rocsparseL27csrsv_analysis_lower_kernelILj1024ELj64ELb0EiiEEvT3_PKT2_PKS1_PS2_PiS7_PS1_21rocsparse_index_base_20rocsparse_diag_type_.numbered_sgpr, 29
	.set _ZN9rocsparseL27csrsv_analysis_lower_kernelILj1024ELj64ELb0EiiEEvT3_PKT2_PKS1_PS2_PiS7_PS1_21rocsparse_index_base_20rocsparse_diag_type_.num_named_barrier, 0
	.set _ZN9rocsparseL27csrsv_analysis_lower_kernelILj1024ELj64ELb0EiiEEvT3_PKT2_PKS1_PS2_PiS7_PS1_21rocsparse_index_base_20rocsparse_diag_type_.private_seg_size, 0
	.set _ZN9rocsparseL27csrsv_analysis_lower_kernelILj1024ELj64ELb0EiiEEvT3_PKT2_PKS1_PS2_PiS7_PS1_21rocsparse_index_base_20rocsparse_diag_type_.uses_vcc, 1
	.set _ZN9rocsparseL27csrsv_analysis_lower_kernelILj1024ELj64ELb0EiiEEvT3_PKT2_PKS1_PS2_PiS7_PS1_21rocsparse_index_base_20rocsparse_diag_type_.uses_flat_scratch, 0
	.set _ZN9rocsparseL27csrsv_analysis_lower_kernelILj1024ELj64ELb0EiiEEvT3_PKT2_PKS1_PS2_PiS7_PS1_21rocsparse_index_base_20rocsparse_diag_type_.has_dyn_sized_stack, 0
	.set _ZN9rocsparseL27csrsv_analysis_lower_kernelILj1024ELj64ELb0EiiEEvT3_PKT2_PKS1_PS2_PiS7_PS1_21rocsparse_index_base_20rocsparse_diag_type_.has_recursion, 0
	.set _ZN9rocsparseL27csrsv_analysis_lower_kernelILj1024ELj64ELb0EiiEEvT3_PKT2_PKS1_PS2_PiS7_PS1_21rocsparse_index_base_20rocsparse_diag_type_.has_indirect_call, 0
	.section	.AMDGPU.csdata,"",@progbits
; Kernel info:
; codeLenInByte = 984
; TotalNumSgprs: 33
; NumVgprs: 15
; ScratchSize: 0
; MemoryBound: 0
; FloatMode: 240
; IeeeMode: 1
; LDSByteSize: 64 bytes/workgroup (compile time only)
; SGPRBlocks: 4
; VGPRBlocks: 3
; NumSGPRsForWavesPerEU: 33
; NumVGPRsForWavesPerEU: 15
; Occupancy: 10
; WaveLimiterHint : 1
; COMPUTE_PGM_RSRC2:SCRATCH_EN: 0
; COMPUTE_PGM_RSRC2:USER_SGPR: 6
; COMPUTE_PGM_RSRC2:TRAP_HANDLER: 0
; COMPUTE_PGM_RSRC2:TGID_X_EN: 1
; COMPUTE_PGM_RSRC2:TGID_Y_EN: 0
; COMPUTE_PGM_RSRC2:TGID_Z_EN: 0
; COMPUTE_PGM_RSRC2:TIDIG_COMP_CNT: 0
	.section	.text._ZN9rocsparseL27csrsv_analysis_upper_kernelILj1024ELj64ELb1EliEEvT3_PKT2_PKS1_PS2_PiS7_PS1_21rocsparse_index_base_20rocsparse_diag_type_,"axG",@progbits,_ZN9rocsparseL27csrsv_analysis_upper_kernelILj1024ELj64ELb1EliEEvT3_PKT2_PKS1_PS2_PiS7_PS1_21rocsparse_index_base_20rocsparse_diag_type_,comdat
	.globl	_ZN9rocsparseL27csrsv_analysis_upper_kernelILj1024ELj64ELb1EliEEvT3_PKT2_PKS1_PS2_PiS7_PS1_21rocsparse_index_base_20rocsparse_diag_type_ ; -- Begin function _ZN9rocsparseL27csrsv_analysis_upper_kernelILj1024ELj64ELb1EliEEvT3_PKT2_PKS1_PS2_PiS7_PS1_21rocsparse_index_base_20rocsparse_diag_type_
	.p2align	8
	.type	_ZN9rocsparseL27csrsv_analysis_upper_kernelILj1024ELj64ELb1EliEEvT3_PKT2_PKS1_PS2_PiS7_PS1_21rocsparse_index_base_20rocsparse_diag_type_,@function
_ZN9rocsparseL27csrsv_analysis_upper_kernelILj1024ELj64ELb1EliEEvT3_PKT2_PKS1_PS2_PiS7_PS1_21rocsparse_index_base_20rocsparse_diag_type_: ; @_ZN9rocsparseL27csrsv_analysis_upper_kernelILj1024ELj64ELb1EliEEvT3_PKT2_PKS1_PS2_PiS7_PS1_21rocsparse_index_base_20rocsparse_diag_type_
; %bb.0:
	s_load_dword s28, s[4:5], 0x0
	s_lshl_b32 s29, s6, 4
	s_not_b32 s0, s29
	v_lshrrev_b32_e32 v2, 6, v0
	v_lshlrev_b32_e32 v12, 2, v2
	s_waitcnt lgkmcnt(0)
	s_add_i32 s30, s28, s0
	v_sub_u32_e32 v1, s30, v2
	v_mov_b32_e32 v2, 0
	v_cmp_lt_i32_e32 vcc, -1, v1
	ds_write_b32 v12, v2
	s_waitcnt lgkmcnt(0)
	s_barrier
	s_and_saveexec_b64 s[0:1], vcc
	s_cbranch_execz .LBB6_37
; %bb.1:
	s_load_dwordx2 s[0:1], s[4:5], 0x8
	s_load_dwordx4 s[8:11], s[4:5], 0x18
	v_and_b32_e32 v0, 63, v0
	v_lshlrev_b64 v[3:4], 3, v[1:2]
	v_cmp_eq_u32_e32 vcc, 0, v0
	s_and_saveexec_b64 s[2:3], vcc
	s_cbranch_execz .LBB6_3
; %bb.2:
	s_waitcnt lgkmcnt(0)
	v_mov_b32_e32 v6, s9
	v_add_co_u32_e32 v5, vcc, s8, v3
	v_mov_b32_e32 v7, -1
	v_addc_co_u32_e32 v6, vcc, v6, v4, vcc
	v_mov_b32_e32 v8, v7
	global_store_dwordx2 v[5:6], v[7:8], off
.LBB6_3:
	s_or_b64 exec, exec, s[2:3]
	s_waitcnt lgkmcnt(0)
	v_mov_b32_e32 v6, s1
	v_add_co_u32_e32 v5, vcc, s0, v3
	v_addc_co_u32_e32 v6, vcc, v6, v4, vcc
	global_load_dwordx4 v[5:8], v[5:6], off
	s_load_dwordx2 s[6:7], s[4:5], 0x38
	s_load_dwordx4 s[0:3], s[4:5], 0x28
	v_not_b32_e32 v9, v0
	v_ashrrev_i32_e32 v11, 31, v9
	v_mov_b32_e32 v17, 0
	s_waitcnt vmcnt(0) lgkmcnt(0)
	v_subrev_co_u32_e32 v5, vcc, s6, v5
	v_subbrev_co_u32_e32 v6, vcc, 0, v6, vcc
	v_subrev_co_u32_e32 v13, vcc, s6, v7
	v_subbrev_co_u32_e32 v14, vcc, 0, v8, vcc
	v_add_co_u32_e32 v10, vcc, v13, v9
	v_addc_co_u32_e32 v11, vcc, v14, v11, vcc
	v_cmp_ge_i64_e32 vcc, v[10:11], v[5:6]
	s_and_saveexec_b64 s[12:13], vcc
	s_cbranch_execz .LBB6_27
; %bb.4:
	s_load_dwordx2 s[4:5], s[4:5], 0x10
	v_mov_b32_e32 v17, 0
	s_mov_b64 s[14:15], 0
                                        ; implicit-def: $sgpr16_sgpr17
                                        ; implicit-def: $sgpr20_sgpr21
                                        ; implicit-def: $sgpr18_sgpr19
	s_waitcnt lgkmcnt(0)
	v_mov_b32_e32 v16, s5
	s_branch .LBB6_8
.LBB6_5:                                ;   in Loop: Header=BB6_8 Depth=1
	s_or_b64 exec, exec, s[26:27]
.LBB6_6:                                ;   in Loop: Header=BB6_8 Depth=1
	s_or_b64 exec, exec, s[24:25]
	v_add_co_u32_e32 v10, vcc, 0xffffffc0, v7
	v_addc_co_u32_e32 v11, vcc, -1, v8, vcc
	v_cmp_lt_i64_e32 vcc, v[10:11], v[5:6]
	s_andn2_b64 s[20:21], s[20:21], exec
	s_and_b64 s[24:25], vcc, exec
	v_max_i32_e32 v17, v17, v15
	s_andn2_b64 s[18:19], s[18:19], exec
	s_or_b64 s[20:21], s[20:21], s[24:25]
.LBB6_7:                                ;   in Loop: Header=BB6_8 Depth=1
	s_or_b64 exec, exec, s[22:23]
	s_and_b64 s[22:23], exec, s[20:21]
	s_or_b64 s[14:15], s[22:23], s[14:15]
	s_andn2_b64 s[16:17], s[16:17], exec
	s_and_b64 s[22:23], s[18:19], exec
	s_or_b64 s[16:17], s[16:17], s[22:23]
	s_andn2_b64 exec, exec, s[14:15]
	s_cbranch_execz .LBB6_14
.LBB6_8:                                ; =>This Loop Header: Depth=1
                                        ;     Child Loop BB6_12 Depth 2
                                        ;       Child Loop BB6_13 Depth 3
	v_mov_b32_e32 v7, v10
	v_mov_b32_e32 v8, v11
	v_lshlrev_b64 v[9:10], 2, v[7:8]
	v_mov_b32_e32 v15, v17
	v_add_co_u32_e32 v9, vcc, s4, v9
	v_addc_co_u32_e32 v10, vcc, v16, v10, vcc
	global_load_dword v9, v[9:10], off glc slc
	s_or_b64 s[18:19], s[18:19], exec
	s_or_b64 s[20:21], s[20:21], exec
                                        ; implicit-def: $vgpr10_vgpr11
                                        ; implicit-def: $vgpr17
	s_waitcnt vmcnt(0)
	v_subrev_u32_e32 v9, s6, v9
	v_cmp_lt_i32_e32 vcc, s30, v9
	s_and_saveexec_b64 s[22:23], vcc
	s_cbranch_execz .LBB6_7
; %bb.9:                                ;   in Loop: Header=BB6_8 Depth=1
	v_ashrrev_i32_e32 v10, 31, v9
	v_lshlrev_b64 v[10:11], 2, v[9:10]
	v_mov_b32_e32 v17, s11
	v_add_co_u32_e32 v10, vcc, s10, v10
	v_addc_co_u32_e32 v11, vcc, v17, v11, vcc
	global_load_dword v17, v[10:11], off glc
	s_waitcnt vmcnt(0)
	v_cmp_eq_u32_e32 vcc, 0, v17
	s_and_saveexec_b64 s[24:25], vcc
	s_cbranch_execz .LBB6_6
; %bb.10:                               ;   in Loop: Header=BB6_8 Depth=1
	s_mov_b32 s5, 0
	s_mov_b64 s[26:27], 0
	s_branch .LBB6_12
.LBB6_11:                               ;   in Loop: Header=BB6_12 Depth=2
	global_load_dword v17, v[10:11], off glc
	s_cmpk_lt_u32 s5, 0xf43
	s_cselect_b64 s[34:35], -1, 0
	s_cmp_lg_u64 s[34:35], 0
	s_addc_u32 s5, s5, 0
	s_waitcnt vmcnt(0)
	v_cmp_ne_u32_e32 vcc, 0, v17
	s_or_b64 s[26:27], vcc, s[26:27]
	s_andn2_b64 exec, exec, s[26:27]
	s_cbranch_execz .LBB6_5
.LBB6_12:                               ;   Parent Loop BB6_8 Depth=1
                                        ; =>  This Loop Header: Depth=2
                                        ;       Child Loop BB6_13 Depth 3
	s_cmp_eq_u32 s5, 0
	s_mov_b32 s31, s5
	s_cbranch_scc1 .LBB6_11
.LBB6_13:                               ;   Parent Loop BB6_8 Depth=1
                                        ;     Parent Loop BB6_12 Depth=2
                                        ; =>    This Inner Loop Header: Depth=3
	s_add_i32 s31, s31, -1
	s_cmp_eq_u32 s31, 0
	s_sleep 1
	s_cbranch_scc0 .LBB6_13
	s_branch .LBB6_11
.LBB6_14:
	s_or_b64 exec, exec, s[14:15]
	s_and_saveexec_b64 s[4:5], s[16:17]
	s_xor_b64 s[4:5], exec, s[4:5]
	s_cbranch_execz .LBB6_26
; %bb.15:
	v_cmp_eq_u32_e32 vcc, v9, v1
	s_and_saveexec_b64 s[14:15], vcc
	s_cbranch_execz .LBB6_17
; %bb.16:
	v_mov_b32_e32 v11, s9
	v_add_co_u32_e32 v10, vcc, s8, v3
	v_addc_co_u32_e32 v11, vcc, v11, v4, vcc
	global_store_dwordx2 v[10:11], v[7:8], off
.LBB6_17:
	s_or_b64 exec, exec, s[14:15]
	v_cmp_gt_i32_e32 vcc, v9, v1
	s_and_saveexec_b64 s[14:15], vcc
	s_cbranch_execz .LBB6_25
; %bb.18:
	s_xor_b32 s16, s29, 0x3ffffff0
	s_add_i32 s28, s28, s16
	v_sub_u32_e32 v7, s28, v9
	v_lshlrev_b32_e32 v7, 2, v7
	ds_read_b32 v8, v7 offset:60
	s_mov_b32 s20, 0
	s_waitcnt lgkmcnt(0)
	v_cmp_eq_u32_e32 vcc, 0, v8
	s_and_saveexec_b64 s[16:17], vcc
	s_cbranch_execz .LBB6_24
; %bb.19:
	s_mov_b64 s[18:19], 0
	s_branch .LBB6_21
.LBB6_20:                               ;   in Loop: Header=BB6_21 Depth=1
	ds_read_b32 v8, v7 offset:60
	s_cmpk_lt_u32 s20, 0xf43
	s_cselect_b64 s[22:23], -1, 0
	s_cmp_lg_u64 s[22:23], 0
	s_addc_u32 s20, s20, 0
	s_waitcnt lgkmcnt(0)
	v_cmp_ne_u32_e32 vcc, 0, v8
	s_or_b64 s[18:19], vcc, s[18:19]
	s_andn2_b64 exec, exec, s[18:19]
	s_cbranch_execz .LBB6_23
.LBB6_21:                               ; =>This Loop Header: Depth=1
                                        ;     Child Loop BB6_22 Depth 2
	s_cmp_eq_u32 s20, 0
	s_mov_b32 s21, s20
	s_cbranch_scc1 .LBB6_20
.LBB6_22:                               ;   Parent Loop BB6_21 Depth=1
                                        ; =>  This Inner Loop Header: Depth=2
	s_add_i32 s21, s21, -1
	s_cmp_eq_u32 s21, 0
	s_sleep 1
	s_cbranch_scc0 .LBB6_22
	s_branch .LBB6_20
.LBB6_23:
	s_or_b64 exec, exec, s[18:19]
.LBB6_24:
	s_or_b64 exec, exec, s[16:17]
	v_max_i32_e32 v15, v8, v15
.LBB6_25:
	s_or_b64 exec, exec, s[14:15]
	v_mov_b32_e32 v17, v15
.LBB6_26:
	s_or_b64 exec, exec, s[4:5]
.LBB6_27:
	s_or_b64 exec, exec, s[12:13]
	v_mov_b32_dpp v7, v17 row_shr:1 row_mask:0xf bank_mask:0xf
	v_max_i32_e32 v7, v17, v7
	v_cmp_eq_u32_e32 vcc, 63, v0
	s_nop 0
	v_mov_b32_dpp v8, v7 row_shr:2 row_mask:0xf bank_mask:0xf
	v_max_i32_e32 v7, v7, v8
	s_nop 1
	v_mov_b32_dpp v8, v7 row_shr:4 row_mask:0xf bank_mask:0xe
	v_max_i32_e32 v7, v7, v8
	;; [unrolled: 3-line block ×3, first 2 shown]
	s_nop 1
	v_mov_b32_dpp v8, v7 row_bcast:15 row_mask:0xa bank_mask:0xf
	v_max_i32_e32 v7, v7, v8
	s_nop 1
	v_mov_b32_dpp v8, v7 row_bcast:31 row_mask:0xc bank_mask:0xf
	s_and_b64 exec, exec, vcc
	s_cbranch_execz .LBB6_37
; %bb.28:
	v_max_i32_e32 v0, v7, v8
	v_lshlrev_b64 v[7:8], 2, v[1:2]
	v_mov_b32_e32 v2, s11
	v_add_co_u32_e32 v7, vcc, s10, v7
	v_add_u32_e32 v0, 1, v0
	v_addc_co_u32_e32 v8, vcc, v2, v8, vcc
	ds_write_b32 v12, v0
	global_store_dword v[7:8], v0, off
	v_sub_co_u32_e32 v0, vcc, v13, v5
	s_mov_b64 s[4:5], exec
	v_subb_co_u32_e32 v2, vcc, v14, v6, vcc
	s_mov_b64 s[10:11], 0
.LBB6_29:                               ; =>This Inner Loop Header: Depth=1
	s_ff1_i32_b64 s14, s[4:5]
	v_readlane_b32 s15, v2, s14
	v_readlane_b32 s16, v0, s14
	v_mov_b32_e32 v5, s16
	v_mov_b32_e32 v6, s15
	v_cmp_gt_u64_e32 vcc, s[10:11], v[5:6]
	s_and_b64 s[12:13], vcc, exec
	s_cselect_b32 s11, s11, s15
	s_cselect_b32 s10, s10, s16
	s_lshl_b64 s[12:13], 1, s14
	s_andn2_b64 s[4:5], s[4:5], s[12:13]
	s_cmp_lg_u64 s[4:5], 0
	s_cbranch_scc1 .LBB6_29
; %bb.30:
	v_mbcnt_lo_u32_b32 v0, exec_lo, 0
	v_mbcnt_hi_u32_b32 v0, exec_hi, v0
	v_cmp_eq_u32_e32 vcc, 0, v0
	s_and_saveexec_b64 s[4:5], vcc
	s_xor_b64 s[4:5], exec, s[4:5]
	s_cbranch_execz .LBB6_32
; %bb.31:
	v_mov_b32_e32 v5, s10
	v_mov_b32_e32 v0, 0
	v_mov_b32_e32 v6, s11
	global_atomic_umax_x2 v0, v[5:6], s[0:1]
.LBB6_32:
	s_or_b64 exec, exec, s[4:5]
	v_mov_b32_e32 v0, s9
	v_add_co_u32_e32 v2, vcc, s8, v3
	v_addc_co_u32_e32 v3, vcc, v0, v4, vcc
	global_load_dwordx2 v[2:3], v[2:3], off
	s_cmp_eq_u32 s7, 0
	s_cselect_b64 s[0:1], -1, 0
	s_waitcnt vmcnt(0)
	v_cmp_eq_u64_e32 vcc, -1, v[2:3]
	s_and_b64 s[0:1], s[0:1], vcc
	s_and_b64 exec, exec, s[0:1]
	s_cbranch_execz .LBB6_37
; %bb.33:
	s_mov_b64 s[0:1], exec
	v_add_u32_e32 v0, s6, v1
	s_brev_b32 s4, -2
.LBB6_34:                               ; =>This Inner Loop Header: Depth=1
	s_ff1_i32_b64 s5, s[0:1]
	v_readlane_b32 s8, v0, s5
	s_lshl_b64 s[6:7], 1, s5
	s_min_i32 s4, s4, s8
	s_andn2_b64 s[0:1], s[0:1], s[6:7]
	s_cmp_lg_u64 s[0:1], 0
	s_cbranch_scc1 .LBB6_34
; %bb.35:
	v_mbcnt_lo_u32_b32 v0, exec_lo, 0
	v_mbcnt_hi_u32_b32 v0, exec_hi, v0
	v_cmp_eq_u32_e32 vcc, 0, v0
	s_and_saveexec_b64 s[0:1], vcc
	s_xor_b64 s[0:1], exec, s[0:1]
	s_cbranch_execz .LBB6_37
; %bb.36:
	v_mov_b32_e32 v0, 0
	v_mov_b32_e32 v1, s4
	global_atomic_smin v0, v1, s[2:3]
.LBB6_37:
	s_endpgm
	.section	.rodata,"a",@progbits
	.p2align	6, 0x0
	.amdhsa_kernel _ZN9rocsparseL27csrsv_analysis_upper_kernelILj1024ELj64ELb1EliEEvT3_PKT2_PKS1_PS2_PiS7_PS1_21rocsparse_index_base_20rocsparse_diag_type_
		.amdhsa_group_segment_fixed_size 64
		.amdhsa_private_segment_fixed_size 0
		.amdhsa_kernarg_size 64
		.amdhsa_user_sgpr_count 6
		.amdhsa_user_sgpr_private_segment_buffer 1
		.amdhsa_user_sgpr_dispatch_ptr 0
		.amdhsa_user_sgpr_queue_ptr 0
		.amdhsa_user_sgpr_kernarg_segment_ptr 1
		.amdhsa_user_sgpr_dispatch_id 0
		.amdhsa_user_sgpr_flat_scratch_init 0
		.amdhsa_user_sgpr_private_segment_size 0
		.amdhsa_uses_dynamic_stack 0
		.amdhsa_system_sgpr_private_segment_wavefront_offset 0
		.amdhsa_system_sgpr_workgroup_id_x 1
		.amdhsa_system_sgpr_workgroup_id_y 0
		.amdhsa_system_sgpr_workgroup_id_z 0
		.amdhsa_system_sgpr_workgroup_info 0
		.amdhsa_system_vgpr_workitem_id 0
		.amdhsa_next_free_vgpr 18
		.amdhsa_next_free_sgpr 36
		.amdhsa_reserve_vcc 1
		.amdhsa_reserve_flat_scratch 0
		.amdhsa_float_round_mode_32 0
		.amdhsa_float_round_mode_16_64 0
		.amdhsa_float_denorm_mode_32 3
		.amdhsa_float_denorm_mode_16_64 3
		.amdhsa_dx10_clamp 1
		.amdhsa_ieee_mode 1
		.amdhsa_fp16_overflow 0
		.amdhsa_exception_fp_ieee_invalid_op 0
		.amdhsa_exception_fp_denorm_src 0
		.amdhsa_exception_fp_ieee_div_zero 0
		.amdhsa_exception_fp_ieee_overflow 0
		.amdhsa_exception_fp_ieee_underflow 0
		.amdhsa_exception_fp_ieee_inexact 0
		.amdhsa_exception_int_div_zero 0
	.end_amdhsa_kernel
	.section	.text._ZN9rocsparseL27csrsv_analysis_upper_kernelILj1024ELj64ELb1EliEEvT3_PKT2_PKS1_PS2_PiS7_PS1_21rocsparse_index_base_20rocsparse_diag_type_,"axG",@progbits,_ZN9rocsparseL27csrsv_analysis_upper_kernelILj1024ELj64ELb1EliEEvT3_PKT2_PKS1_PS2_PiS7_PS1_21rocsparse_index_base_20rocsparse_diag_type_,comdat
.Lfunc_end6:
	.size	_ZN9rocsparseL27csrsv_analysis_upper_kernelILj1024ELj64ELb1EliEEvT3_PKT2_PKS1_PS2_PiS7_PS1_21rocsparse_index_base_20rocsparse_diag_type_, .Lfunc_end6-_ZN9rocsparseL27csrsv_analysis_upper_kernelILj1024ELj64ELb1EliEEvT3_PKT2_PKS1_PS2_PiS7_PS1_21rocsparse_index_base_20rocsparse_diag_type_
                                        ; -- End function
	.set _ZN9rocsparseL27csrsv_analysis_upper_kernelILj1024ELj64ELb1EliEEvT3_PKT2_PKS1_PS2_PiS7_PS1_21rocsparse_index_base_20rocsparse_diag_type_.num_vgpr, 18
	.set _ZN9rocsparseL27csrsv_analysis_upper_kernelILj1024ELj64ELb1EliEEvT3_PKT2_PKS1_PS2_PiS7_PS1_21rocsparse_index_base_20rocsparse_diag_type_.num_agpr, 0
	.set _ZN9rocsparseL27csrsv_analysis_upper_kernelILj1024ELj64ELb1EliEEvT3_PKT2_PKS1_PS2_PiS7_PS1_21rocsparse_index_base_20rocsparse_diag_type_.numbered_sgpr, 36
	.set _ZN9rocsparseL27csrsv_analysis_upper_kernelILj1024ELj64ELb1EliEEvT3_PKT2_PKS1_PS2_PiS7_PS1_21rocsparse_index_base_20rocsparse_diag_type_.num_named_barrier, 0
	.set _ZN9rocsparseL27csrsv_analysis_upper_kernelILj1024ELj64ELb1EliEEvT3_PKT2_PKS1_PS2_PiS7_PS1_21rocsparse_index_base_20rocsparse_diag_type_.private_seg_size, 0
	.set _ZN9rocsparseL27csrsv_analysis_upper_kernelILj1024ELj64ELb1EliEEvT3_PKT2_PKS1_PS2_PiS7_PS1_21rocsparse_index_base_20rocsparse_diag_type_.uses_vcc, 1
	.set _ZN9rocsparseL27csrsv_analysis_upper_kernelILj1024ELj64ELb1EliEEvT3_PKT2_PKS1_PS2_PiS7_PS1_21rocsparse_index_base_20rocsparse_diag_type_.uses_flat_scratch, 0
	.set _ZN9rocsparseL27csrsv_analysis_upper_kernelILj1024ELj64ELb1EliEEvT3_PKT2_PKS1_PS2_PiS7_PS1_21rocsparse_index_base_20rocsparse_diag_type_.has_dyn_sized_stack, 0
	.set _ZN9rocsparseL27csrsv_analysis_upper_kernelILj1024ELj64ELb1EliEEvT3_PKT2_PKS1_PS2_PiS7_PS1_21rocsparse_index_base_20rocsparse_diag_type_.has_recursion, 0
	.set _ZN9rocsparseL27csrsv_analysis_upper_kernelILj1024ELj64ELb1EliEEvT3_PKT2_PKS1_PS2_PiS7_PS1_21rocsparse_index_base_20rocsparse_diag_type_.has_indirect_call, 0
	.section	.AMDGPU.csdata,"",@progbits
; Kernel info:
; codeLenInByte = 1184
; TotalNumSgprs: 40
; NumVgprs: 18
; ScratchSize: 0
; MemoryBound: 0
; FloatMode: 240
; IeeeMode: 1
; LDSByteSize: 64 bytes/workgroup (compile time only)
; SGPRBlocks: 4
; VGPRBlocks: 4
; NumSGPRsForWavesPerEU: 40
; NumVGPRsForWavesPerEU: 18
; Occupancy: 10
; WaveLimiterHint : 1
; COMPUTE_PGM_RSRC2:SCRATCH_EN: 0
; COMPUTE_PGM_RSRC2:USER_SGPR: 6
; COMPUTE_PGM_RSRC2:TRAP_HANDLER: 0
; COMPUTE_PGM_RSRC2:TGID_X_EN: 1
; COMPUTE_PGM_RSRC2:TGID_Y_EN: 0
; COMPUTE_PGM_RSRC2:TGID_Z_EN: 0
; COMPUTE_PGM_RSRC2:TIDIG_COMP_CNT: 0
	.section	.text._ZN9rocsparseL27csrsv_analysis_lower_kernelILj1024ELj64ELb1EliEEvT3_PKT2_PKS1_PS2_PiS7_PS1_21rocsparse_index_base_20rocsparse_diag_type_,"axG",@progbits,_ZN9rocsparseL27csrsv_analysis_lower_kernelILj1024ELj64ELb1EliEEvT3_PKT2_PKS1_PS2_PiS7_PS1_21rocsparse_index_base_20rocsparse_diag_type_,comdat
	.globl	_ZN9rocsparseL27csrsv_analysis_lower_kernelILj1024ELj64ELb1EliEEvT3_PKT2_PKS1_PS2_PiS7_PS1_21rocsparse_index_base_20rocsparse_diag_type_ ; -- Begin function _ZN9rocsparseL27csrsv_analysis_lower_kernelILj1024ELj64ELb1EliEEvT3_PKT2_PKS1_PS2_PiS7_PS1_21rocsparse_index_base_20rocsparse_diag_type_
	.p2align	8
	.type	_ZN9rocsparseL27csrsv_analysis_lower_kernelILj1024ELj64ELb1EliEEvT3_PKT2_PKS1_PS2_PiS7_PS1_21rocsparse_index_base_20rocsparse_diag_type_,@function
_ZN9rocsparseL27csrsv_analysis_lower_kernelILj1024ELj64ELb1EliEEvT3_PKT2_PKS1_PS2_PiS7_PS1_21rocsparse_index_base_20rocsparse_diag_type_: ; @_ZN9rocsparseL27csrsv_analysis_lower_kernelILj1024ELj64ELb1EliEEvT3_PKT2_PKS1_PS2_PiS7_PS1_21rocsparse_index_base_20rocsparse_diag_type_
; %bb.0:
	s_load_dword s0, s[4:5], 0x0
	v_lshrrev_b32_e32 v2, 6, v0
	s_lshl_b32 s28, s6, 4
	v_or_b32_e32 v1, s28, v2
	v_lshlrev_b32_e32 v12, 2, v2
	v_mov_b32_e32 v2, 0
	s_waitcnt lgkmcnt(0)
	v_cmp_gt_i32_e32 vcc, s0, v1
	ds_write_b32 v12, v2
	s_waitcnt lgkmcnt(0)
	s_barrier
	s_and_saveexec_b64 s[0:1], vcc
	s_cbranch_execz .LBB7_37
; %bb.1:
	s_load_dwordx2 s[0:1], s[4:5], 0x8
	s_load_dwordx4 s[8:11], s[4:5], 0x18
	v_ashrrev_i32_e32 v2, 31, v1
	v_and_b32_e32 v0, 63, v0
	v_lshlrev_b64 v[3:4], 3, v[1:2]
	v_cmp_eq_u32_e32 vcc, 0, v0
	s_and_saveexec_b64 s[2:3], vcc
	s_cbranch_execz .LBB7_3
; %bb.2:
	s_waitcnt lgkmcnt(0)
	v_mov_b32_e32 v6, s9
	v_add_co_u32_e32 v5, vcc, s8, v3
	v_mov_b32_e32 v7, -1
	v_addc_co_u32_e32 v6, vcc, v6, v4, vcc
	v_mov_b32_e32 v8, v7
	global_store_dwordx2 v[5:6], v[7:8], off
.LBB7_3:
	s_or_b64 exec, exec, s[2:3]
	s_waitcnt lgkmcnt(0)
	v_mov_b32_e32 v6, s1
	v_add_co_u32_e32 v5, vcc, s0, v3
	v_addc_co_u32_e32 v6, vcc, v6, v4, vcc
	global_load_dwordx4 v[5:8], v[5:6], off
	s_load_dwordx2 s[6:7], s[4:5], 0x38
	s_load_dwordx4 s[0:3], s[4:5], 0x28
	v_mov_b32_e32 v17, 0
	s_waitcnt vmcnt(0) lgkmcnt(0)
	v_subrev_co_u32_e32 v13, vcc, s6, v5
	v_subbrev_co_u32_e32 v14, vcc, 0, v6, vcc
	v_subrev_co_u32_e32 v5, vcc, s6, v7
	v_subbrev_co_u32_e32 v6, vcc, 0, v8, vcc
	v_add_co_u32_e32 v10, vcc, v13, v0
	v_addc_co_u32_e32 v11, vcc, 0, v14, vcc
	v_cmp_lt_i64_e32 vcc, v[10:11], v[5:6]
	s_and_saveexec_b64 s[12:13], vcc
	s_cbranch_execz .LBB7_27
; %bb.4:
	s_load_dwordx2 s[4:5], s[4:5], 0x10
	v_mov_b32_e32 v17, 0
	s_mov_b64 s[14:15], 0
                                        ; implicit-def: $sgpr16_sgpr17
                                        ; implicit-def: $sgpr20_sgpr21
                                        ; implicit-def: $sgpr18_sgpr19
	s_waitcnt lgkmcnt(0)
	v_mov_b32_e32 v16, s5
	s_branch .LBB7_8
.LBB7_5:                                ;   in Loop: Header=BB7_8 Depth=1
	s_or_b64 exec, exec, s[26:27]
.LBB7_6:                                ;   in Loop: Header=BB7_8 Depth=1
	s_or_b64 exec, exec, s[24:25]
	v_add_co_u32_e32 v10, vcc, 64, v7
	v_addc_co_u32_e32 v11, vcc, 0, v8, vcc
	v_cmp_ge_i64_e32 vcc, v[10:11], v[5:6]
	s_andn2_b64 s[20:21], s[20:21], exec
	s_and_b64 s[24:25], vcc, exec
	v_max_i32_e32 v17, v17, v15
	s_andn2_b64 s[18:19], s[18:19], exec
	s_or_b64 s[20:21], s[20:21], s[24:25]
.LBB7_7:                                ;   in Loop: Header=BB7_8 Depth=1
	s_or_b64 exec, exec, s[22:23]
	s_and_b64 s[22:23], exec, s[20:21]
	s_or_b64 s[14:15], s[22:23], s[14:15]
	s_andn2_b64 s[16:17], s[16:17], exec
	s_and_b64 s[22:23], s[18:19], exec
	s_or_b64 s[16:17], s[16:17], s[22:23]
	s_andn2_b64 exec, exec, s[14:15]
	s_cbranch_execz .LBB7_14
.LBB7_8:                                ; =>This Loop Header: Depth=1
                                        ;     Child Loop BB7_12 Depth 2
                                        ;       Child Loop BB7_13 Depth 3
	v_mov_b32_e32 v7, v10
	v_mov_b32_e32 v8, v11
	v_lshlrev_b64 v[9:10], 2, v[7:8]
	v_mov_b32_e32 v15, v17
	v_add_co_u32_e32 v9, vcc, s4, v9
	v_addc_co_u32_e32 v10, vcc, v16, v10, vcc
	global_load_dword v9, v[9:10], off glc slc
	s_or_b64 s[18:19], s[18:19], exec
	s_or_b64 s[20:21], s[20:21], exec
                                        ; implicit-def: $vgpr10_vgpr11
                                        ; implicit-def: $vgpr17
	s_waitcnt vmcnt(0)
	v_subrev_u32_e32 v9, s6, v9
	v_cmp_gt_i32_e32 vcc, s28, v9
	s_and_saveexec_b64 s[22:23], vcc
	s_cbranch_execz .LBB7_7
; %bb.9:                                ;   in Loop: Header=BB7_8 Depth=1
	v_ashrrev_i32_e32 v10, 31, v9
	v_lshlrev_b64 v[10:11], 2, v[9:10]
	v_mov_b32_e32 v17, s11
	v_add_co_u32_e32 v10, vcc, s10, v10
	v_addc_co_u32_e32 v11, vcc, v17, v11, vcc
	global_load_dword v17, v[10:11], off glc
	s_waitcnt vmcnt(0)
	v_cmp_eq_u32_e32 vcc, 0, v17
	s_and_saveexec_b64 s[24:25], vcc
	s_cbranch_execz .LBB7_6
; %bb.10:                               ;   in Loop: Header=BB7_8 Depth=1
	s_mov_b32 s5, 0
	s_mov_b64 s[26:27], 0
	s_branch .LBB7_12
.LBB7_11:                               ;   in Loop: Header=BB7_12 Depth=2
	global_load_dword v17, v[10:11], off glc
	s_cmpk_lt_u32 s5, 0xf43
	s_cselect_b64 s[30:31], -1, 0
	s_cmp_lg_u64 s[30:31], 0
	s_addc_u32 s5, s5, 0
	s_waitcnt vmcnt(0)
	v_cmp_ne_u32_e32 vcc, 0, v17
	s_or_b64 s[26:27], vcc, s[26:27]
	s_andn2_b64 exec, exec, s[26:27]
	s_cbranch_execz .LBB7_5
.LBB7_12:                               ;   Parent Loop BB7_8 Depth=1
                                        ; =>  This Loop Header: Depth=2
                                        ;       Child Loop BB7_13 Depth 3
	s_cmp_eq_u32 s5, 0
	s_mov_b32 s29, s5
	s_cbranch_scc1 .LBB7_11
.LBB7_13:                               ;   Parent Loop BB7_8 Depth=1
                                        ;     Parent Loop BB7_12 Depth=2
                                        ; =>    This Inner Loop Header: Depth=3
	s_add_i32 s29, s29, -1
	s_cmp_eq_u32 s29, 0
	s_sleep 1
	s_cbranch_scc0 .LBB7_13
	s_branch .LBB7_11
.LBB7_14:
	s_or_b64 exec, exec, s[14:15]
	s_and_saveexec_b64 s[4:5], s[16:17]
	s_xor_b64 s[4:5], exec, s[4:5]
	s_cbranch_execz .LBB7_26
; %bb.15:
	v_cmp_eq_u32_e32 vcc, v9, v1
	s_and_saveexec_b64 s[14:15], vcc
	s_cbranch_execz .LBB7_17
; %bb.16:
	v_mov_b32_e32 v11, s9
	v_add_co_u32_e32 v10, vcc, s8, v3
	v_addc_co_u32_e32 v11, vcc, v11, v4, vcc
	global_store_dwordx2 v[10:11], v[7:8], off
.LBB7_17:
	s_or_b64 exec, exec, s[14:15]
	v_cmp_lt_i32_e32 vcc, v9, v1
	s_and_saveexec_b64 s[14:15], vcc
	s_cbranch_execz .LBB7_25
; %bb.18:
	v_subrev_u32_e32 v7, s28, v9
	v_lshlrev_b32_e32 v7, 2, v7
	ds_read_b32 v8, v7
	s_mov_b32 s20, 0
	s_waitcnt lgkmcnt(0)
	v_cmp_eq_u32_e32 vcc, 0, v8
	s_and_saveexec_b64 s[16:17], vcc
	s_cbranch_execz .LBB7_24
; %bb.19:
	s_mov_b64 s[18:19], 0
	s_branch .LBB7_21
.LBB7_20:                               ;   in Loop: Header=BB7_21 Depth=1
	ds_read_b32 v8, v7
	s_cmpk_lt_u32 s20, 0xf43
	s_cselect_b64 s[22:23], -1, 0
	s_cmp_lg_u64 s[22:23], 0
	s_addc_u32 s20, s20, 0
	s_waitcnt lgkmcnt(0)
	v_cmp_ne_u32_e32 vcc, 0, v8
	s_or_b64 s[18:19], vcc, s[18:19]
	s_andn2_b64 exec, exec, s[18:19]
	s_cbranch_execz .LBB7_23
.LBB7_21:                               ; =>This Loop Header: Depth=1
                                        ;     Child Loop BB7_22 Depth 2
	s_cmp_eq_u32 s20, 0
	s_mov_b32 s21, s20
	s_cbranch_scc1 .LBB7_20
.LBB7_22:                               ;   Parent Loop BB7_21 Depth=1
                                        ; =>  This Inner Loop Header: Depth=2
	s_add_i32 s21, s21, -1
	s_cmp_eq_u32 s21, 0
	s_sleep 1
	s_cbranch_scc0 .LBB7_22
	s_branch .LBB7_20
.LBB7_23:
	s_or_b64 exec, exec, s[18:19]
.LBB7_24:
	s_or_b64 exec, exec, s[16:17]
	v_max_i32_e32 v15, v8, v15
.LBB7_25:
	s_or_b64 exec, exec, s[14:15]
	v_mov_b32_e32 v17, v15
.LBB7_26:
	s_or_b64 exec, exec, s[4:5]
.LBB7_27:
	s_or_b64 exec, exec, s[12:13]
	v_mov_b32_dpp v7, v17 row_shr:1 row_mask:0xf bank_mask:0xf
	v_max_i32_e32 v7, v17, v7
	v_cmp_eq_u32_e32 vcc, 63, v0
	s_nop 0
	v_mov_b32_dpp v8, v7 row_shr:2 row_mask:0xf bank_mask:0xf
	v_max_i32_e32 v7, v7, v8
	s_nop 1
	v_mov_b32_dpp v8, v7 row_shr:4 row_mask:0xf bank_mask:0xe
	v_max_i32_e32 v7, v7, v8
	;; [unrolled: 3-line block ×3, first 2 shown]
	s_nop 1
	v_mov_b32_dpp v8, v7 row_bcast:15 row_mask:0xa bank_mask:0xf
	v_max_i32_e32 v7, v7, v8
	s_nop 1
	v_mov_b32_dpp v8, v7 row_bcast:31 row_mask:0xc bank_mask:0xf
	s_and_b64 exec, exec, vcc
	s_cbranch_execz .LBB7_37
; %bb.28:
	v_max_i32_e32 v0, v7, v8
	v_lshlrev_b64 v[7:8], 2, v[1:2]
	v_mov_b32_e32 v2, s11
	v_add_co_u32_e32 v7, vcc, s10, v7
	v_add_u32_e32 v0, 1, v0
	v_addc_co_u32_e32 v8, vcc, v2, v8, vcc
	ds_write_b32 v12, v0
	global_store_dword v[7:8], v0, off
	v_sub_co_u32_e32 v0, vcc, v5, v13
	s_mov_b64 s[4:5], exec
	v_subb_co_u32_e32 v2, vcc, v6, v14, vcc
	s_mov_b64 s[10:11], 0
.LBB7_29:                               ; =>This Inner Loop Header: Depth=1
	s_ff1_i32_b64 s14, s[4:5]
	v_readlane_b32 s15, v2, s14
	v_readlane_b32 s16, v0, s14
	v_mov_b32_e32 v5, s16
	v_mov_b32_e32 v6, s15
	v_cmp_gt_u64_e32 vcc, s[10:11], v[5:6]
	s_and_b64 s[12:13], vcc, exec
	s_cselect_b32 s11, s11, s15
	s_cselect_b32 s10, s10, s16
	s_lshl_b64 s[12:13], 1, s14
	s_andn2_b64 s[4:5], s[4:5], s[12:13]
	s_cmp_lg_u64 s[4:5], 0
	s_cbranch_scc1 .LBB7_29
; %bb.30:
	v_mbcnt_lo_u32_b32 v0, exec_lo, 0
	v_mbcnt_hi_u32_b32 v0, exec_hi, v0
	v_cmp_eq_u32_e32 vcc, 0, v0
	s_and_saveexec_b64 s[4:5], vcc
	s_xor_b64 s[4:5], exec, s[4:5]
	s_cbranch_execz .LBB7_32
; %bb.31:
	v_mov_b32_e32 v5, s10
	v_mov_b32_e32 v0, 0
	;; [unrolled: 1-line block ×3, first 2 shown]
	global_atomic_umax_x2 v0, v[5:6], s[0:1]
.LBB7_32:
	s_or_b64 exec, exec, s[4:5]
	v_mov_b32_e32 v0, s9
	v_add_co_u32_e32 v2, vcc, s8, v3
	v_addc_co_u32_e32 v3, vcc, v0, v4, vcc
	global_load_dwordx2 v[2:3], v[2:3], off
	s_cmp_eq_u32 s7, 0
	s_cselect_b64 s[0:1], -1, 0
	s_waitcnt vmcnt(0)
	v_cmp_eq_u64_e32 vcc, -1, v[2:3]
	s_and_b64 s[0:1], s[0:1], vcc
	s_and_b64 exec, exec, s[0:1]
	s_cbranch_execz .LBB7_37
; %bb.33:
	s_mov_b64 s[0:1], exec
	v_add_u32_e32 v0, s6, v1
	s_brev_b32 s4, -2
.LBB7_34:                               ; =>This Inner Loop Header: Depth=1
	s_ff1_i32_b64 s5, s[0:1]
	v_readlane_b32 s8, v0, s5
	s_lshl_b64 s[6:7], 1, s5
	s_min_i32 s4, s4, s8
	s_andn2_b64 s[0:1], s[0:1], s[6:7]
	s_cmp_lg_u64 s[0:1], 0
	s_cbranch_scc1 .LBB7_34
; %bb.35:
	v_mbcnt_lo_u32_b32 v0, exec_lo, 0
	v_mbcnt_hi_u32_b32 v0, exec_hi, v0
	v_cmp_eq_u32_e32 vcc, 0, v0
	s_and_saveexec_b64 s[0:1], vcc
	s_xor_b64 s[0:1], exec, s[0:1]
	s_cbranch_execz .LBB7_37
; %bb.36:
	v_mov_b32_e32 v0, 0
	v_mov_b32_e32 v1, s4
	global_atomic_smin v0, v1, s[2:3]
.LBB7_37:
	s_endpgm
	.section	.rodata,"a",@progbits
	.p2align	6, 0x0
	.amdhsa_kernel _ZN9rocsparseL27csrsv_analysis_lower_kernelILj1024ELj64ELb1EliEEvT3_PKT2_PKS1_PS2_PiS7_PS1_21rocsparse_index_base_20rocsparse_diag_type_
		.amdhsa_group_segment_fixed_size 64
		.amdhsa_private_segment_fixed_size 0
		.amdhsa_kernarg_size 64
		.amdhsa_user_sgpr_count 6
		.amdhsa_user_sgpr_private_segment_buffer 1
		.amdhsa_user_sgpr_dispatch_ptr 0
		.amdhsa_user_sgpr_queue_ptr 0
		.amdhsa_user_sgpr_kernarg_segment_ptr 1
		.amdhsa_user_sgpr_dispatch_id 0
		.amdhsa_user_sgpr_flat_scratch_init 0
		.amdhsa_user_sgpr_private_segment_size 0
		.amdhsa_uses_dynamic_stack 0
		.amdhsa_system_sgpr_private_segment_wavefront_offset 0
		.amdhsa_system_sgpr_workgroup_id_x 1
		.amdhsa_system_sgpr_workgroup_id_y 0
		.amdhsa_system_sgpr_workgroup_id_z 0
		.amdhsa_system_sgpr_workgroup_info 0
		.amdhsa_system_vgpr_workitem_id 0
		.amdhsa_next_free_vgpr 18
		.amdhsa_next_free_sgpr 32
		.amdhsa_reserve_vcc 1
		.amdhsa_reserve_flat_scratch 0
		.amdhsa_float_round_mode_32 0
		.amdhsa_float_round_mode_16_64 0
		.amdhsa_float_denorm_mode_32 3
		.amdhsa_float_denorm_mode_16_64 3
		.amdhsa_dx10_clamp 1
		.amdhsa_ieee_mode 1
		.amdhsa_fp16_overflow 0
		.amdhsa_exception_fp_ieee_invalid_op 0
		.amdhsa_exception_fp_denorm_src 0
		.amdhsa_exception_fp_ieee_div_zero 0
		.amdhsa_exception_fp_ieee_overflow 0
		.amdhsa_exception_fp_ieee_underflow 0
		.amdhsa_exception_fp_ieee_inexact 0
		.amdhsa_exception_int_div_zero 0
	.end_amdhsa_kernel
	.section	.text._ZN9rocsparseL27csrsv_analysis_lower_kernelILj1024ELj64ELb1EliEEvT3_PKT2_PKS1_PS2_PiS7_PS1_21rocsparse_index_base_20rocsparse_diag_type_,"axG",@progbits,_ZN9rocsparseL27csrsv_analysis_lower_kernelILj1024ELj64ELb1EliEEvT3_PKT2_PKS1_PS2_PiS7_PS1_21rocsparse_index_base_20rocsparse_diag_type_,comdat
.Lfunc_end7:
	.size	_ZN9rocsparseL27csrsv_analysis_lower_kernelILj1024ELj64ELb1EliEEvT3_PKT2_PKS1_PS2_PiS7_PS1_21rocsparse_index_base_20rocsparse_diag_type_, .Lfunc_end7-_ZN9rocsparseL27csrsv_analysis_lower_kernelILj1024ELj64ELb1EliEEvT3_PKT2_PKS1_PS2_PiS7_PS1_21rocsparse_index_base_20rocsparse_diag_type_
                                        ; -- End function
	.set _ZN9rocsparseL27csrsv_analysis_lower_kernelILj1024ELj64ELb1EliEEvT3_PKT2_PKS1_PS2_PiS7_PS1_21rocsparse_index_base_20rocsparse_diag_type_.num_vgpr, 18
	.set _ZN9rocsparseL27csrsv_analysis_lower_kernelILj1024ELj64ELb1EliEEvT3_PKT2_PKS1_PS2_PiS7_PS1_21rocsparse_index_base_20rocsparse_diag_type_.num_agpr, 0
	.set _ZN9rocsparseL27csrsv_analysis_lower_kernelILj1024ELj64ELb1EliEEvT3_PKT2_PKS1_PS2_PiS7_PS1_21rocsparse_index_base_20rocsparse_diag_type_.numbered_sgpr, 32
	.set _ZN9rocsparseL27csrsv_analysis_lower_kernelILj1024ELj64ELb1EliEEvT3_PKT2_PKS1_PS2_PiS7_PS1_21rocsparse_index_base_20rocsparse_diag_type_.num_named_barrier, 0
	.set _ZN9rocsparseL27csrsv_analysis_lower_kernelILj1024ELj64ELb1EliEEvT3_PKT2_PKS1_PS2_PiS7_PS1_21rocsparse_index_base_20rocsparse_diag_type_.private_seg_size, 0
	.set _ZN9rocsparseL27csrsv_analysis_lower_kernelILj1024ELj64ELb1EliEEvT3_PKT2_PKS1_PS2_PiS7_PS1_21rocsparse_index_base_20rocsparse_diag_type_.uses_vcc, 1
	.set _ZN9rocsparseL27csrsv_analysis_lower_kernelILj1024ELj64ELb1EliEEvT3_PKT2_PKS1_PS2_PiS7_PS1_21rocsparse_index_base_20rocsparse_diag_type_.uses_flat_scratch, 0
	.set _ZN9rocsparseL27csrsv_analysis_lower_kernelILj1024ELj64ELb1EliEEvT3_PKT2_PKS1_PS2_PiS7_PS1_21rocsparse_index_base_20rocsparse_diag_type_.has_dyn_sized_stack, 0
	.set _ZN9rocsparseL27csrsv_analysis_lower_kernelILj1024ELj64ELb1EliEEvT3_PKT2_PKS1_PS2_PiS7_PS1_21rocsparse_index_base_20rocsparse_diag_type_.has_recursion, 0
	.set _ZN9rocsparseL27csrsv_analysis_lower_kernelILj1024ELj64ELb1EliEEvT3_PKT2_PKS1_PS2_PiS7_PS1_21rocsparse_index_base_20rocsparse_diag_type_.has_indirect_call, 0
	.section	.AMDGPU.csdata,"",@progbits
; Kernel info:
; codeLenInByte = 1156
; TotalNumSgprs: 36
; NumVgprs: 18
; ScratchSize: 0
; MemoryBound: 0
; FloatMode: 240
; IeeeMode: 1
; LDSByteSize: 64 bytes/workgroup (compile time only)
; SGPRBlocks: 4
; VGPRBlocks: 4
; NumSGPRsForWavesPerEU: 36
; NumVGPRsForWavesPerEU: 18
; Occupancy: 10
; WaveLimiterHint : 1
; COMPUTE_PGM_RSRC2:SCRATCH_EN: 0
; COMPUTE_PGM_RSRC2:USER_SGPR: 6
; COMPUTE_PGM_RSRC2:TRAP_HANDLER: 0
; COMPUTE_PGM_RSRC2:TGID_X_EN: 1
; COMPUTE_PGM_RSRC2:TGID_Y_EN: 0
; COMPUTE_PGM_RSRC2:TGID_Z_EN: 0
; COMPUTE_PGM_RSRC2:TIDIG_COMP_CNT: 0
	.section	.text._ZN9rocsparseL27csrsv_analysis_upper_kernelILj1024ELj32ELb0EliEEvT3_PKT2_PKS1_PS2_PiS7_PS1_21rocsparse_index_base_20rocsparse_diag_type_,"axG",@progbits,_ZN9rocsparseL27csrsv_analysis_upper_kernelILj1024ELj32ELb0EliEEvT3_PKT2_PKS1_PS2_PiS7_PS1_21rocsparse_index_base_20rocsparse_diag_type_,comdat
	.globl	_ZN9rocsparseL27csrsv_analysis_upper_kernelILj1024ELj32ELb0EliEEvT3_PKT2_PKS1_PS2_PiS7_PS1_21rocsparse_index_base_20rocsparse_diag_type_ ; -- Begin function _ZN9rocsparseL27csrsv_analysis_upper_kernelILj1024ELj32ELb0EliEEvT3_PKT2_PKS1_PS2_PiS7_PS1_21rocsparse_index_base_20rocsparse_diag_type_
	.p2align	8
	.type	_ZN9rocsparseL27csrsv_analysis_upper_kernelILj1024ELj32ELb0EliEEvT3_PKT2_PKS1_PS2_PiS7_PS1_21rocsparse_index_base_20rocsparse_diag_type_,@function
_ZN9rocsparseL27csrsv_analysis_upper_kernelILj1024ELj32ELb0EliEEvT3_PKT2_PKS1_PS2_PiS7_PS1_21rocsparse_index_base_20rocsparse_diag_type_: ; @_ZN9rocsparseL27csrsv_analysis_upper_kernelILj1024ELj32ELb0EliEEvT3_PKT2_PKS1_PS2_PiS7_PS1_21rocsparse_index_base_20rocsparse_diag_type_
; %bb.0:
	s_load_dword s28, s[4:5], 0x0
	s_lshl_b32 s29, s6, 5
	s_not_b32 s0, s29
	v_lshrrev_b32_e32 v2, 5, v0
	v_lshlrev_b32_e32 v12, 2, v2
	s_waitcnt lgkmcnt(0)
	s_add_i32 s30, s28, s0
	v_sub_u32_e32 v1, s30, v2
	v_mov_b32_e32 v2, 0
	v_cmp_lt_i32_e32 vcc, -1, v1
	ds_write_b32 v12, v2
	s_waitcnt lgkmcnt(0)
	s_barrier
	s_and_saveexec_b64 s[0:1], vcc
	s_cbranch_execz .LBB8_33
; %bb.1:
	s_load_dwordx2 s[0:1], s[4:5], 0x8
	s_load_dwordx4 s[8:11], s[4:5], 0x18
	v_and_b32_e32 v0, 31, v0
	v_lshlrev_b64 v[3:4], 3, v[1:2]
	v_cmp_eq_u32_e32 vcc, 0, v0
	s_and_saveexec_b64 s[2:3], vcc
	s_cbranch_execz .LBB8_3
; %bb.2:
	s_waitcnt lgkmcnt(0)
	v_mov_b32_e32 v6, s9
	v_add_co_u32_e32 v5, vcc, s8, v3
	v_mov_b32_e32 v7, -1
	v_addc_co_u32_e32 v6, vcc, v6, v4, vcc
	v_mov_b32_e32 v8, v7
	global_store_dwordx2 v[5:6], v[7:8], off
.LBB8_3:
	s_or_b64 exec, exec, s[2:3]
	s_waitcnt lgkmcnt(0)
	v_mov_b32_e32 v6, s1
	v_add_co_u32_e32 v5, vcc, s0, v3
	v_addc_co_u32_e32 v6, vcc, v6, v4, vcc
	global_load_dwordx4 v[5:8], v[5:6], off
	s_load_dwordx2 s[6:7], s[4:5], 0x38
	s_load_dwordx4 s[0:3], s[4:5], 0x28
	v_not_b32_e32 v9, v0
	v_ashrrev_i32_e32 v11, 31, v9
	v_mov_b32_e32 v17, 0
	s_waitcnt vmcnt(0) lgkmcnt(0)
	v_subrev_co_u32_e32 v5, vcc, s6, v5
	v_subbrev_co_u32_e32 v6, vcc, 0, v6, vcc
	v_subrev_co_u32_e32 v13, vcc, s6, v7
	v_subbrev_co_u32_e32 v14, vcc, 0, v8, vcc
	v_add_co_u32_e32 v10, vcc, v13, v9
	v_addc_co_u32_e32 v11, vcc, v14, v11, vcc
	v_cmp_ge_i64_e32 vcc, v[10:11], v[5:6]
	s_and_saveexec_b64 s[12:13], vcc
	s_cbranch_execz .LBB8_23
; %bb.4:
	s_load_dwordx2 s[4:5], s[4:5], 0x10
	v_mov_b32_e32 v17, 0
	s_mov_b64 s[14:15], 0
                                        ; implicit-def: $sgpr16_sgpr17
                                        ; implicit-def: $sgpr20_sgpr21
                                        ; implicit-def: $sgpr18_sgpr19
	s_waitcnt lgkmcnt(0)
	v_mov_b32_e32 v16, s5
	s_branch .LBB8_7
.LBB8_5:                                ;   in Loop: Header=BB8_7 Depth=1
	s_or_b64 exec, exec, s[24:25]
	v_add_co_u32_e32 v10, vcc, 0xffffffe0, v7
	v_addc_co_u32_e32 v11, vcc, -1, v8, vcc
	v_cmp_lt_i64_e32 vcc, v[10:11], v[5:6]
	s_andn2_b64 s[20:21], s[20:21], exec
	s_and_b64 s[24:25], vcc, exec
	v_max_i32_e32 v17, v17, v15
	s_andn2_b64 s[18:19], s[18:19], exec
	s_or_b64 s[20:21], s[20:21], s[24:25]
.LBB8_6:                                ;   in Loop: Header=BB8_7 Depth=1
	s_or_b64 exec, exec, s[22:23]
	s_and_b64 s[22:23], exec, s[20:21]
	s_or_b64 s[14:15], s[22:23], s[14:15]
	s_andn2_b64 s[16:17], s[16:17], exec
	s_and_b64 s[22:23], s[18:19], exec
	s_or_b64 s[16:17], s[16:17], s[22:23]
	s_andn2_b64 exec, exec, s[14:15]
	s_cbranch_execz .LBB8_12
.LBB8_7:                                ; =>This Loop Header: Depth=1
                                        ;     Child Loop BB8_10 Depth 2
	v_mov_b32_e32 v7, v10
	v_mov_b32_e32 v8, v11
	v_lshlrev_b64 v[9:10], 2, v[7:8]
	v_mov_b32_e32 v15, v17
	v_add_co_u32_e32 v9, vcc, s4, v9
	v_addc_co_u32_e32 v10, vcc, v16, v10, vcc
	global_load_dword v9, v[9:10], off glc slc
	s_or_b64 s[18:19], s[18:19], exec
	s_or_b64 s[20:21], s[20:21], exec
                                        ; implicit-def: $vgpr10_vgpr11
                                        ; implicit-def: $vgpr17
	s_waitcnt vmcnt(0)
	v_subrev_u32_e32 v9, s6, v9
	v_cmp_lt_i32_e32 vcc, s30, v9
	s_and_saveexec_b64 s[22:23], vcc
	s_cbranch_execz .LBB8_6
; %bb.8:                                ;   in Loop: Header=BB8_7 Depth=1
	v_ashrrev_i32_e32 v10, 31, v9
	v_lshlrev_b64 v[10:11], 2, v[9:10]
	v_mov_b32_e32 v17, s11
	v_add_co_u32_e32 v10, vcc, s10, v10
	v_addc_co_u32_e32 v11, vcc, v17, v11, vcc
	global_load_dword v17, v[10:11], off glc
	s_waitcnt vmcnt(0)
	v_cmp_eq_u32_e32 vcc, 0, v17
	s_and_saveexec_b64 s[24:25], vcc
	s_cbranch_execz .LBB8_5
; %bb.9:                                ;   in Loop: Header=BB8_7 Depth=1
	s_mov_b64 s[26:27], 0
.LBB8_10:                               ;   Parent Loop BB8_7 Depth=1
                                        ; =>  This Inner Loop Header: Depth=2
	global_load_dword v17, v[10:11], off glc
	s_waitcnt vmcnt(0)
	v_cmp_ne_u32_e32 vcc, 0, v17
	s_or_b64 s[26:27], vcc, s[26:27]
	s_andn2_b64 exec, exec, s[26:27]
	s_cbranch_execnz .LBB8_10
; %bb.11:                               ;   in Loop: Header=BB8_7 Depth=1
	s_or_b64 exec, exec, s[26:27]
	s_branch .LBB8_5
.LBB8_12:
	s_or_b64 exec, exec, s[14:15]
	s_and_saveexec_b64 s[4:5], s[16:17]
	s_xor_b64 s[4:5], exec, s[4:5]
	s_cbranch_execz .LBB8_22
; %bb.13:
	v_cmp_eq_u32_e32 vcc, v9, v1
	s_and_saveexec_b64 s[14:15], vcc
	s_cbranch_execz .LBB8_15
; %bb.14:
	v_mov_b32_e32 v11, s9
	v_add_co_u32_e32 v10, vcc, s8, v3
	v_addc_co_u32_e32 v11, vcc, v11, v4, vcc
	global_store_dwordx2 v[10:11], v[7:8], off
.LBB8_15:
	s_or_b64 exec, exec, s[14:15]
	v_cmp_gt_i32_e32 vcc, v9, v1
	s_and_saveexec_b64 s[14:15], vcc
	s_cbranch_execz .LBB8_21
; %bb.16:
	s_xor_b32 s16, s29, 0x3fffffe0
	s_add_i32 s28, s28, s16
	v_sub_u32_e32 v7, s28, v9
	v_lshlrev_b32_e32 v8, 2, v7
	ds_read_b32 v7, v8 offset:124
	s_waitcnt lgkmcnt(0)
	v_cmp_eq_u32_e32 vcc, 0, v7
	s_and_saveexec_b64 s[16:17], vcc
	s_cbranch_execz .LBB8_20
; %bb.17:
	s_mov_b64 s[18:19], 0
.LBB8_18:                               ; =>This Inner Loop Header: Depth=1
	ds_read_b32 v7, v8 offset:124
	s_waitcnt lgkmcnt(0)
	v_cmp_ne_u32_e32 vcc, 0, v7
	s_or_b64 s[18:19], vcc, s[18:19]
	s_andn2_b64 exec, exec, s[18:19]
	s_cbranch_execnz .LBB8_18
; %bb.19:
	s_or_b64 exec, exec, s[18:19]
.LBB8_20:
	s_or_b64 exec, exec, s[16:17]
	v_max_i32_e32 v15, v7, v15
.LBB8_21:
	s_or_b64 exec, exec, s[14:15]
	v_mov_b32_e32 v17, v15
.LBB8_22:
	s_or_b64 exec, exec, s[4:5]
.LBB8_23:
	s_or_b64 exec, exec, s[12:13]
	v_mov_b32_dpp v7, v17 row_shr:1 row_mask:0xf bank_mask:0xf
	v_max_i32_e32 v7, v17, v7
	v_cmp_eq_u32_e32 vcc, 31, v0
	s_nop 0
	v_mov_b32_dpp v8, v7 row_shr:2 row_mask:0xf bank_mask:0xf
	v_max_i32_e32 v7, v7, v8
	s_nop 1
	v_mov_b32_dpp v8, v7 row_shr:4 row_mask:0xf bank_mask:0xe
	v_max_i32_e32 v7, v7, v8
	;; [unrolled: 3-line block ×3, first 2 shown]
	s_nop 1
	v_mov_b32_dpp v8, v7 row_bcast:15 row_mask:0xa bank_mask:0xf
	s_and_b64 exec, exec, vcc
	s_cbranch_execz .LBB8_33
; %bb.24:
	v_max_i32_e32 v0, v7, v8
	v_lshlrev_b64 v[7:8], 2, v[1:2]
	v_mov_b32_e32 v2, s11
	v_add_co_u32_e32 v7, vcc, s10, v7
	v_add_u32_e32 v0, 1, v0
	v_addc_co_u32_e32 v8, vcc, v2, v8, vcc
	ds_write_b32 v12, v0
	global_store_dword v[7:8], v0, off
	v_sub_co_u32_e32 v0, vcc, v13, v5
	s_mov_b64 s[4:5], exec
	v_subb_co_u32_e32 v2, vcc, v14, v6, vcc
	s_mov_b64 s[10:11], 0
.LBB8_25:                               ; =>This Inner Loop Header: Depth=1
	s_ff1_i32_b64 s14, s[4:5]
	v_readlane_b32 s15, v2, s14
	v_readlane_b32 s16, v0, s14
	v_mov_b32_e32 v5, s16
	v_mov_b32_e32 v6, s15
	v_cmp_gt_u64_e32 vcc, s[10:11], v[5:6]
	s_and_b64 s[12:13], vcc, exec
	s_cselect_b32 s11, s11, s15
	s_cselect_b32 s10, s10, s16
	s_lshl_b64 s[12:13], 1, s14
	s_andn2_b64 s[4:5], s[4:5], s[12:13]
	s_cmp_lg_u64 s[4:5], 0
	s_cbranch_scc1 .LBB8_25
; %bb.26:
	v_mbcnt_lo_u32_b32 v0, exec_lo, 0
	v_mbcnt_hi_u32_b32 v0, exec_hi, v0
	v_cmp_eq_u32_e32 vcc, 0, v0
	s_and_saveexec_b64 s[4:5], vcc
	s_xor_b64 s[4:5], exec, s[4:5]
	s_cbranch_execz .LBB8_28
; %bb.27:
	v_mov_b32_e32 v5, s10
	v_mov_b32_e32 v0, 0
	;; [unrolled: 1-line block ×3, first 2 shown]
	global_atomic_umax_x2 v0, v[5:6], s[0:1]
.LBB8_28:
	s_or_b64 exec, exec, s[4:5]
	v_mov_b32_e32 v0, s9
	v_add_co_u32_e32 v2, vcc, s8, v3
	v_addc_co_u32_e32 v3, vcc, v0, v4, vcc
	global_load_dwordx2 v[2:3], v[2:3], off
	s_cmp_eq_u32 s7, 0
	s_cselect_b64 s[0:1], -1, 0
	s_waitcnt vmcnt(0)
	v_cmp_eq_u64_e32 vcc, -1, v[2:3]
	s_and_b64 s[0:1], s[0:1], vcc
	s_and_b64 exec, exec, s[0:1]
	s_cbranch_execz .LBB8_33
; %bb.29:
	s_mov_b64 s[0:1], exec
	v_add_u32_e32 v0, s6, v1
	s_brev_b32 s4, -2
.LBB8_30:                               ; =>This Inner Loop Header: Depth=1
	s_ff1_i32_b64 s5, s[0:1]
	v_readlane_b32 s8, v0, s5
	s_lshl_b64 s[6:7], 1, s5
	s_min_i32 s4, s4, s8
	s_andn2_b64 s[0:1], s[0:1], s[6:7]
	s_cmp_lg_u64 s[0:1], 0
	s_cbranch_scc1 .LBB8_30
; %bb.31:
	v_mbcnt_lo_u32_b32 v0, exec_lo, 0
	v_mbcnt_hi_u32_b32 v0, exec_hi, v0
	v_cmp_eq_u32_e32 vcc, 0, v0
	s_and_saveexec_b64 s[0:1], vcc
	s_xor_b64 s[0:1], exec, s[0:1]
	s_cbranch_execz .LBB8_33
; %bb.32:
	v_mov_b32_e32 v0, 0
	v_mov_b32_e32 v1, s4
	global_atomic_smin v0, v1, s[2:3]
.LBB8_33:
	s_endpgm
	.section	.rodata,"a",@progbits
	.p2align	6, 0x0
	.amdhsa_kernel _ZN9rocsparseL27csrsv_analysis_upper_kernelILj1024ELj32ELb0EliEEvT3_PKT2_PKS1_PS2_PiS7_PS1_21rocsparse_index_base_20rocsparse_diag_type_
		.amdhsa_group_segment_fixed_size 128
		.amdhsa_private_segment_fixed_size 0
		.amdhsa_kernarg_size 64
		.amdhsa_user_sgpr_count 6
		.amdhsa_user_sgpr_private_segment_buffer 1
		.amdhsa_user_sgpr_dispatch_ptr 0
		.amdhsa_user_sgpr_queue_ptr 0
		.amdhsa_user_sgpr_kernarg_segment_ptr 1
		.amdhsa_user_sgpr_dispatch_id 0
		.amdhsa_user_sgpr_flat_scratch_init 0
		.amdhsa_user_sgpr_private_segment_size 0
		.amdhsa_uses_dynamic_stack 0
		.amdhsa_system_sgpr_private_segment_wavefront_offset 0
		.amdhsa_system_sgpr_workgroup_id_x 1
		.amdhsa_system_sgpr_workgroup_id_y 0
		.amdhsa_system_sgpr_workgroup_id_z 0
		.amdhsa_system_sgpr_workgroup_info 0
		.amdhsa_system_vgpr_workitem_id 0
		.amdhsa_next_free_vgpr 18
		.amdhsa_next_free_sgpr 31
		.amdhsa_reserve_vcc 1
		.amdhsa_reserve_flat_scratch 0
		.amdhsa_float_round_mode_32 0
		.amdhsa_float_round_mode_16_64 0
		.amdhsa_float_denorm_mode_32 3
		.amdhsa_float_denorm_mode_16_64 3
		.amdhsa_dx10_clamp 1
		.amdhsa_ieee_mode 1
		.amdhsa_fp16_overflow 0
		.amdhsa_exception_fp_ieee_invalid_op 0
		.amdhsa_exception_fp_denorm_src 0
		.amdhsa_exception_fp_ieee_div_zero 0
		.amdhsa_exception_fp_ieee_overflow 0
		.amdhsa_exception_fp_ieee_underflow 0
		.amdhsa_exception_fp_ieee_inexact 0
		.amdhsa_exception_int_div_zero 0
	.end_amdhsa_kernel
	.section	.text._ZN9rocsparseL27csrsv_analysis_upper_kernelILj1024ELj32ELb0EliEEvT3_PKT2_PKS1_PS2_PiS7_PS1_21rocsparse_index_base_20rocsparse_diag_type_,"axG",@progbits,_ZN9rocsparseL27csrsv_analysis_upper_kernelILj1024ELj32ELb0EliEEvT3_PKT2_PKS1_PS2_PiS7_PS1_21rocsparse_index_base_20rocsparse_diag_type_,comdat
.Lfunc_end8:
	.size	_ZN9rocsparseL27csrsv_analysis_upper_kernelILj1024ELj32ELb0EliEEvT3_PKT2_PKS1_PS2_PiS7_PS1_21rocsparse_index_base_20rocsparse_diag_type_, .Lfunc_end8-_ZN9rocsparseL27csrsv_analysis_upper_kernelILj1024ELj32ELb0EliEEvT3_PKT2_PKS1_PS2_PiS7_PS1_21rocsparse_index_base_20rocsparse_diag_type_
                                        ; -- End function
	.set _ZN9rocsparseL27csrsv_analysis_upper_kernelILj1024ELj32ELb0EliEEvT3_PKT2_PKS1_PS2_PiS7_PS1_21rocsparse_index_base_20rocsparse_diag_type_.num_vgpr, 18
	.set _ZN9rocsparseL27csrsv_analysis_upper_kernelILj1024ELj32ELb0EliEEvT3_PKT2_PKS1_PS2_PiS7_PS1_21rocsparse_index_base_20rocsparse_diag_type_.num_agpr, 0
	.set _ZN9rocsparseL27csrsv_analysis_upper_kernelILj1024ELj32ELb0EliEEvT3_PKT2_PKS1_PS2_PiS7_PS1_21rocsparse_index_base_20rocsparse_diag_type_.numbered_sgpr, 31
	.set _ZN9rocsparseL27csrsv_analysis_upper_kernelILj1024ELj32ELb0EliEEvT3_PKT2_PKS1_PS2_PiS7_PS1_21rocsparse_index_base_20rocsparse_diag_type_.num_named_barrier, 0
	.set _ZN9rocsparseL27csrsv_analysis_upper_kernelILj1024ELj32ELb0EliEEvT3_PKT2_PKS1_PS2_PiS7_PS1_21rocsparse_index_base_20rocsparse_diag_type_.private_seg_size, 0
	.set _ZN9rocsparseL27csrsv_analysis_upper_kernelILj1024ELj32ELb0EliEEvT3_PKT2_PKS1_PS2_PiS7_PS1_21rocsparse_index_base_20rocsparse_diag_type_.uses_vcc, 1
	.set _ZN9rocsparseL27csrsv_analysis_upper_kernelILj1024ELj32ELb0EliEEvT3_PKT2_PKS1_PS2_PiS7_PS1_21rocsparse_index_base_20rocsparse_diag_type_.uses_flat_scratch, 0
	.set _ZN9rocsparseL27csrsv_analysis_upper_kernelILj1024ELj32ELb0EliEEvT3_PKT2_PKS1_PS2_PiS7_PS1_21rocsparse_index_base_20rocsparse_diag_type_.has_dyn_sized_stack, 0
	.set _ZN9rocsparseL27csrsv_analysis_upper_kernelILj1024ELj32ELb0EliEEvT3_PKT2_PKS1_PS2_PiS7_PS1_21rocsparse_index_base_20rocsparse_diag_type_.has_recursion, 0
	.set _ZN9rocsparseL27csrsv_analysis_upper_kernelILj1024ELj32ELb0EliEEvT3_PKT2_PKS1_PS2_PiS7_PS1_21rocsparse_index_base_20rocsparse_diag_type_.has_indirect_call, 0
	.section	.AMDGPU.csdata,"",@progbits
; Kernel info:
; codeLenInByte = 1060
; TotalNumSgprs: 35
; NumVgprs: 18
; ScratchSize: 0
; MemoryBound: 0
; FloatMode: 240
; IeeeMode: 1
; LDSByteSize: 128 bytes/workgroup (compile time only)
; SGPRBlocks: 4
; VGPRBlocks: 4
; NumSGPRsForWavesPerEU: 35
; NumVGPRsForWavesPerEU: 18
; Occupancy: 10
; WaveLimiterHint : 1
; COMPUTE_PGM_RSRC2:SCRATCH_EN: 0
; COMPUTE_PGM_RSRC2:USER_SGPR: 6
; COMPUTE_PGM_RSRC2:TRAP_HANDLER: 0
; COMPUTE_PGM_RSRC2:TGID_X_EN: 1
; COMPUTE_PGM_RSRC2:TGID_Y_EN: 0
; COMPUTE_PGM_RSRC2:TGID_Z_EN: 0
; COMPUTE_PGM_RSRC2:TIDIG_COMP_CNT: 0
	.section	.text._ZN9rocsparseL27csrsv_analysis_lower_kernelILj1024ELj32ELb0EliEEvT3_PKT2_PKS1_PS2_PiS7_PS1_21rocsparse_index_base_20rocsparse_diag_type_,"axG",@progbits,_ZN9rocsparseL27csrsv_analysis_lower_kernelILj1024ELj32ELb0EliEEvT3_PKT2_PKS1_PS2_PiS7_PS1_21rocsparse_index_base_20rocsparse_diag_type_,comdat
	.globl	_ZN9rocsparseL27csrsv_analysis_lower_kernelILj1024ELj32ELb0EliEEvT3_PKT2_PKS1_PS2_PiS7_PS1_21rocsparse_index_base_20rocsparse_diag_type_ ; -- Begin function _ZN9rocsparseL27csrsv_analysis_lower_kernelILj1024ELj32ELb0EliEEvT3_PKT2_PKS1_PS2_PiS7_PS1_21rocsparse_index_base_20rocsparse_diag_type_
	.p2align	8
	.type	_ZN9rocsparseL27csrsv_analysis_lower_kernelILj1024ELj32ELb0EliEEvT3_PKT2_PKS1_PS2_PiS7_PS1_21rocsparse_index_base_20rocsparse_diag_type_,@function
_ZN9rocsparseL27csrsv_analysis_lower_kernelILj1024ELj32ELb0EliEEvT3_PKT2_PKS1_PS2_PiS7_PS1_21rocsparse_index_base_20rocsparse_diag_type_: ; @_ZN9rocsparseL27csrsv_analysis_lower_kernelILj1024ELj32ELb0EliEEvT3_PKT2_PKS1_PS2_PiS7_PS1_21rocsparse_index_base_20rocsparse_diag_type_
; %bb.0:
	s_load_dword s0, s[4:5], 0x0
	v_lshrrev_b32_e32 v2, 5, v0
	s_lshl_b32 s28, s6, 5
	v_or_b32_e32 v1, s28, v2
	v_lshlrev_b32_e32 v12, 2, v2
	v_mov_b32_e32 v2, 0
	s_waitcnt lgkmcnt(0)
	v_cmp_gt_i32_e32 vcc, s0, v1
	ds_write_b32 v12, v2
	s_waitcnt lgkmcnt(0)
	s_barrier
	s_and_saveexec_b64 s[0:1], vcc
	s_cbranch_execz .LBB9_33
; %bb.1:
	s_load_dwordx2 s[0:1], s[4:5], 0x8
	s_load_dwordx4 s[8:11], s[4:5], 0x18
	v_ashrrev_i32_e32 v2, 31, v1
	v_and_b32_e32 v0, 31, v0
	v_lshlrev_b64 v[3:4], 3, v[1:2]
	v_cmp_eq_u32_e32 vcc, 0, v0
	s_and_saveexec_b64 s[2:3], vcc
	s_cbranch_execz .LBB9_3
; %bb.2:
	s_waitcnt lgkmcnt(0)
	v_mov_b32_e32 v6, s9
	v_add_co_u32_e32 v5, vcc, s8, v3
	v_mov_b32_e32 v7, -1
	v_addc_co_u32_e32 v6, vcc, v6, v4, vcc
	v_mov_b32_e32 v8, v7
	global_store_dwordx2 v[5:6], v[7:8], off
.LBB9_3:
	s_or_b64 exec, exec, s[2:3]
	s_waitcnt lgkmcnt(0)
	v_mov_b32_e32 v6, s1
	v_add_co_u32_e32 v5, vcc, s0, v3
	v_addc_co_u32_e32 v6, vcc, v6, v4, vcc
	global_load_dwordx4 v[5:8], v[5:6], off
	s_load_dwordx2 s[6:7], s[4:5], 0x38
	s_load_dwordx4 s[0:3], s[4:5], 0x28
	v_mov_b32_e32 v17, 0
	s_waitcnt vmcnt(0) lgkmcnt(0)
	v_subrev_co_u32_e32 v13, vcc, s6, v5
	v_subbrev_co_u32_e32 v14, vcc, 0, v6, vcc
	v_subrev_co_u32_e32 v5, vcc, s6, v7
	v_subbrev_co_u32_e32 v6, vcc, 0, v8, vcc
	v_add_co_u32_e32 v10, vcc, v13, v0
	v_addc_co_u32_e32 v11, vcc, 0, v14, vcc
	v_cmp_lt_i64_e32 vcc, v[10:11], v[5:6]
	s_and_saveexec_b64 s[12:13], vcc
	s_cbranch_execz .LBB9_23
; %bb.4:
	s_load_dwordx2 s[4:5], s[4:5], 0x10
	v_mov_b32_e32 v17, 0
	s_mov_b64 s[14:15], 0
                                        ; implicit-def: $sgpr16_sgpr17
                                        ; implicit-def: $sgpr20_sgpr21
                                        ; implicit-def: $sgpr18_sgpr19
	s_waitcnt lgkmcnt(0)
	v_mov_b32_e32 v16, s5
	s_branch .LBB9_7
.LBB9_5:                                ;   in Loop: Header=BB9_7 Depth=1
	s_or_b64 exec, exec, s[24:25]
	v_add_co_u32_e32 v10, vcc, 32, v7
	v_addc_co_u32_e32 v11, vcc, 0, v8, vcc
	v_cmp_ge_i64_e32 vcc, v[10:11], v[5:6]
	s_andn2_b64 s[20:21], s[20:21], exec
	s_and_b64 s[24:25], vcc, exec
	v_max_i32_e32 v17, v17, v15
	s_andn2_b64 s[18:19], s[18:19], exec
	s_or_b64 s[20:21], s[20:21], s[24:25]
.LBB9_6:                                ;   in Loop: Header=BB9_7 Depth=1
	s_or_b64 exec, exec, s[22:23]
	s_and_b64 s[22:23], exec, s[20:21]
	s_or_b64 s[14:15], s[22:23], s[14:15]
	s_andn2_b64 s[16:17], s[16:17], exec
	s_and_b64 s[22:23], s[18:19], exec
	s_or_b64 s[16:17], s[16:17], s[22:23]
	s_andn2_b64 exec, exec, s[14:15]
	s_cbranch_execz .LBB9_12
.LBB9_7:                                ; =>This Loop Header: Depth=1
                                        ;     Child Loop BB9_10 Depth 2
	v_mov_b32_e32 v7, v10
	v_mov_b32_e32 v8, v11
	v_lshlrev_b64 v[9:10], 2, v[7:8]
	v_mov_b32_e32 v15, v17
	v_add_co_u32_e32 v9, vcc, s4, v9
	v_addc_co_u32_e32 v10, vcc, v16, v10, vcc
	global_load_dword v9, v[9:10], off glc slc
	s_or_b64 s[18:19], s[18:19], exec
	s_or_b64 s[20:21], s[20:21], exec
                                        ; implicit-def: $vgpr10_vgpr11
                                        ; implicit-def: $vgpr17
	s_waitcnt vmcnt(0)
	v_subrev_u32_e32 v9, s6, v9
	v_cmp_gt_i32_e32 vcc, s28, v9
	s_and_saveexec_b64 s[22:23], vcc
	s_cbranch_execz .LBB9_6
; %bb.8:                                ;   in Loop: Header=BB9_7 Depth=1
	v_ashrrev_i32_e32 v10, 31, v9
	v_lshlrev_b64 v[10:11], 2, v[9:10]
	v_mov_b32_e32 v17, s11
	v_add_co_u32_e32 v10, vcc, s10, v10
	v_addc_co_u32_e32 v11, vcc, v17, v11, vcc
	global_load_dword v17, v[10:11], off glc
	s_waitcnt vmcnt(0)
	v_cmp_eq_u32_e32 vcc, 0, v17
	s_and_saveexec_b64 s[24:25], vcc
	s_cbranch_execz .LBB9_5
; %bb.9:                                ;   in Loop: Header=BB9_7 Depth=1
	s_mov_b64 s[26:27], 0
.LBB9_10:                               ;   Parent Loop BB9_7 Depth=1
                                        ; =>  This Inner Loop Header: Depth=2
	global_load_dword v17, v[10:11], off glc
	s_waitcnt vmcnt(0)
	v_cmp_ne_u32_e32 vcc, 0, v17
	s_or_b64 s[26:27], vcc, s[26:27]
	s_andn2_b64 exec, exec, s[26:27]
	s_cbranch_execnz .LBB9_10
; %bb.11:                               ;   in Loop: Header=BB9_7 Depth=1
	s_or_b64 exec, exec, s[26:27]
	s_branch .LBB9_5
.LBB9_12:
	s_or_b64 exec, exec, s[14:15]
	s_and_saveexec_b64 s[4:5], s[16:17]
	s_xor_b64 s[4:5], exec, s[4:5]
	s_cbranch_execz .LBB9_22
; %bb.13:
	v_cmp_eq_u32_e32 vcc, v9, v1
	s_and_saveexec_b64 s[14:15], vcc
	s_cbranch_execz .LBB9_15
; %bb.14:
	v_mov_b32_e32 v11, s9
	v_add_co_u32_e32 v10, vcc, s8, v3
	v_addc_co_u32_e32 v11, vcc, v11, v4, vcc
	global_store_dwordx2 v[10:11], v[7:8], off
.LBB9_15:
	s_or_b64 exec, exec, s[14:15]
	v_cmp_lt_i32_e32 vcc, v9, v1
	s_and_saveexec_b64 s[14:15], vcc
	s_cbranch_execz .LBB9_21
; %bb.16:
	v_subrev_u32_e32 v7, s28, v9
	v_lshlrev_b32_e32 v8, 2, v7
	ds_read_b32 v7, v8
	s_waitcnt lgkmcnt(0)
	v_cmp_eq_u32_e32 vcc, 0, v7
	s_and_saveexec_b64 s[16:17], vcc
	s_cbranch_execz .LBB9_20
; %bb.17:
	s_mov_b64 s[18:19], 0
.LBB9_18:                               ; =>This Inner Loop Header: Depth=1
	ds_read_b32 v7, v8
	s_waitcnt lgkmcnt(0)
	v_cmp_ne_u32_e32 vcc, 0, v7
	s_or_b64 s[18:19], vcc, s[18:19]
	s_andn2_b64 exec, exec, s[18:19]
	s_cbranch_execnz .LBB9_18
; %bb.19:
	s_or_b64 exec, exec, s[18:19]
.LBB9_20:
	s_or_b64 exec, exec, s[16:17]
	v_max_i32_e32 v15, v7, v15
.LBB9_21:
	s_or_b64 exec, exec, s[14:15]
	v_mov_b32_e32 v17, v15
.LBB9_22:
	s_or_b64 exec, exec, s[4:5]
.LBB9_23:
	s_or_b64 exec, exec, s[12:13]
	v_mov_b32_dpp v7, v17 row_shr:1 row_mask:0xf bank_mask:0xf
	v_max_i32_e32 v7, v17, v7
	v_cmp_eq_u32_e32 vcc, 31, v0
	s_nop 0
	v_mov_b32_dpp v8, v7 row_shr:2 row_mask:0xf bank_mask:0xf
	v_max_i32_e32 v7, v7, v8
	s_nop 1
	v_mov_b32_dpp v8, v7 row_shr:4 row_mask:0xf bank_mask:0xe
	v_max_i32_e32 v7, v7, v8
	;; [unrolled: 3-line block ×3, first 2 shown]
	s_nop 1
	v_mov_b32_dpp v8, v7 row_bcast:15 row_mask:0xa bank_mask:0xf
	s_and_b64 exec, exec, vcc
	s_cbranch_execz .LBB9_33
; %bb.24:
	v_max_i32_e32 v0, v7, v8
	v_lshlrev_b64 v[7:8], 2, v[1:2]
	v_mov_b32_e32 v2, s11
	v_add_co_u32_e32 v7, vcc, s10, v7
	v_add_u32_e32 v0, 1, v0
	v_addc_co_u32_e32 v8, vcc, v2, v8, vcc
	ds_write_b32 v12, v0
	global_store_dword v[7:8], v0, off
	v_sub_co_u32_e32 v0, vcc, v5, v13
	s_mov_b64 s[4:5], exec
	v_subb_co_u32_e32 v2, vcc, v6, v14, vcc
	s_mov_b64 s[10:11], 0
.LBB9_25:                               ; =>This Inner Loop Header: Depth=1
	s_ff1_i32_b64 s14, s[4:5]
	v_readlane_b32 s15, v2, s14
	v_readlane_b32 s16, v0, s14
	v_mov_b32_e32 v5, s16
	v_mov_b32_e32 v6, s15
	v_cmp_gt_u64_e32 vcc, s[10:11], v[5:6]
	s_and_b64 s[12:13], vcc, exec
	s_cselect_b32 s11, s11, s15
	s_cselect_b32 s10, s10, s16
	s_lshl_b64 s[12:13], 1, s14
	s_andn2_b64 s[4:5], s[4:5], s[12:13]
	s_cmp_lg_u64 s[4:5], 0
	s_cbranch_scc1 .LBB9_25
; %bb.26:
	v_mbcnt_lo_u32_b32 v0, exec_lo, 0
	v_mbcnt_hi_u32_b32 v0, exec_hi, v0
	v_cmp_eq_u32_e32 vcc, 0, v0
	s_and_saveexec_b64 s[4:5], vcc
	s_xor_b64 s[4:5], exec, s[4:5]
	s_cbranch_execz .LBB9_28
; %bb.27:
	v_mov_b32_e32 v5, s10
	v_mov_b32_e32 v0, 0
	;; [unrolled: 1-line block ×3, first 2 shown]
	global_atomic_umax_x2 v0, v[5:6], s[0:1]
.LBB9_28:
	s_or_b64 exec, exec, s[4:5]
	v_mov_b32_e32 v0, s9
	v_add_co_u32_e32 v2, vcc, s8, v3
	v_addc_co_u32_e32 v3, vcc, v0, v4, vcc
	global_load_dwordx2 v[2:3], v[2:3], off
	s_cmp_eq_u32 s7, 0
	s_cselect_b64 s[0:1], -1, 0
	s_waitcnt vmcnt(0)
	v_cmp_eq_u64_e32 vcc, -1, v[2:3]
	s_and_b64 s[0:1], s[0:1], vcc
	s_and_b64 exec, exec, s[0:1]
	s_cbranch_execz .LBB9_33
; %bb.29:
	s_mov_b64 s[0:1], exec
	v_add_u32_e32 v0, s6, v1
	s_brev_b32 s4, -2
.LBB9_30:                               ; =>This Inner Loop Header: Depth=1
	s_ff1_i32_b64 s5, s[0:1]
	v_readlane_b32 s8, v0, s5
	s_lshl_b64 s[6:7], 1, s5
	s_min_i32 s4, s4, s8
	s_andn2_b64 s[0:1], s[0:1], s[6:7]
	s_cmp_lg_u64 s[0:1], 0
	s_cbranch_scc1 .LBB9_30
; %bb.31:
	v_mbcnt_lo_u32_b32 v0, exec_lo, 0
	v_mbcnt_hi_u32_b32 v0, exec_hi, v0
	v_cmp_eq_u32_e32 vcc, 0, v0
	s_and_saveexec_b64 s[0:1], vcc
	s_xor_b64 s[0:1], exec, s[0:1]
	s_cbranch_execz .LBB9_33
; %bb.32:
	v_mov_b32_e32 v0, 0
	v_mov_b32_e32 v1, s4
	global_atomic_smin v0, v1, s[2:3]
.LBB9_33:
	s_endpgm
	.section	.rodata,"a",@progbits
	.p2align	6, 0x0
	.amdhsa_kernel _ZN9rocsparseL27csrsv_analysis_lower_kernelILj1024ELj32ELb0EliEEvT3_PKT2_PKS1_PS2_PiS7_PS1_21rocsparse_index_base_20rocsparse_diag_type_
		.amdhsa_group_segment_fixed_size 128
		.amdhsa_private_segment_fixed_size 0
		.amdhsa_kernarg_size 64
		.amdhsa_user_sgpr_count 6
		.amdhsa_user_sgpr_private_segment_buffer 1
		.amdhsa_user_sgpr_dispatch_ptr 0
		.amdhsa_user_sgpr_queue_ptr 0
		.amdhsa_user_sgpr_kernarg_segment_ptr 1
		.amdhsa_user_sgpr_dispatch_id 0
		.amdhsa_user_sgpr_flat_scratch_init 0
		.amdhsa_user_sgpr_private_segment_size 0
		.amdhsa_uses_dynamic_stack 0
		.amdhsa_system_sgpr_private_segment_wavefront_offset 0
		.amdhsa_system_sgpr_workgroup_id_x 1
		.amdhsa_system_sgpr_workgroup_id_y 0
		.amdhsa_system_sgpr_workgroup_id_z 0
		.amdhsa_system_sgpr_workgroup_info 0
		.amdhsa_system_vgpr_workitem_id 0
		.amdhsa_next_free_vgpr 18
		.amdhsa_next_free_sgpr 29
		.amdhsa_reserve_vcc 1
		.amdhsa_reserve_flat_scratch 0
		.amdhsa_float_round_mode_32 0
		.amdhsa_float_round_mode_16_64 0
		.amdhsa_float_denorm_mode_32 3
		.amdhsa_float_denorm_mode_16_64 3
		.amdhsa_dx10_clamp 1
		.amdhsa_ieee_mode 1
		.amdhsa_fp16_overflow 0
		.amdhsa_exception_fp_ieee_invalid_op 0
		.amdhsa_exception_fp_denorm_src 0
		.amdhsa_exception_fp_ieee_div_zero 0
		.amdhsa_exception_fp_ieee_overflow 0
		.amdhsa_exception_fp_ieee_underflow 0
		.amdhsa_exception_fp_ieee_inexact 0
		.amdhsa_exception_int_div_zero 0
	.end_amdhsa_kernel
	.section	.text._ZN9rocsparseL27csrsv_analysis_lower_kernelILj1024ELj32ELb0EliEEvT3_PKT2_PKS1_PS2_PiS7_PS1_21rocsparse_index_base_20rocsparse_diag_type_,"axG",@progbits,_ZN9rocsparseL27csrsv_analysis_lower_kernelILj1024ELj32ELb0EliEEvT3_PKT2_PKS1_PS2_PiS7_PS1_21rocsparse_index_base_20rocsparse_diag_type_,comdat
.Lfunc_end9:
	.size	_ZN9rocsparseL27csrsv_analysis_lower_kernelILj1024ELj32ELb0EliEEvT3_PKT2_PKS1_PS2_PiS7_PS1_21rocsparse_index_base_20rocsparse_diag_type_, .Lfunc_end9-_ZN9rocsparseL27csrsv_analysis_lower_kernelILj1024ELj32ELb0EliEEvT3_PKT2_PKS1_PS2_PiS7_PS1_21rocsparse_index_base_20rocsparse_diag_type_
                                        ; -- End function
	.set _ZN9rocsparseL27csrsv_analysis_lower_kernelILj1024ELj32ELb0EliEEvT3_PKT2_PKS1_PS2_PiS7_PS1_21rocsparse_index_base_20rocsparse_diag_type_.num_vgpr, 18
	.set _ZN9rocsparseL27csrsv_analysis_lower_kernelILj1024ELj32ELb0EliEEvT3_PKT2_PKS1_PS2_PiS7_PS1_21rocsparse_index_base_20rocsparse_diag_type_.num_agpr, 0
	.set _ZN9rocsparseL27csrsv_analysis_lower_kernelILj1024ELj32ELb0EliEEvT3_PKT2_PKS1_PS2_PiS7_PS1_21rocsparse_index_base_20rocsparse_diag_type_.numbered_sgpr, 29
	.set _ZN9rocsparseL27csrsv_analysis_lower_kernelILj1024ELj32ELb0EliEEvT3_PKT2_PKS1_PS2_PiS7_PS1_21rocsparse_index_base_20rocsparse_diag_type_.num_named_barrier, 0
	.set _ZN9rocsparseL27csrsv_analysis_lower_kernelILj1024ELj32ELb0EliEEvT3_PKT2_PKS1_PS2_PiS7_PS1_21rocsparse_index_base_20rocsparse_diag_type_.private_seg_size, 0
	.set _ZN9rocsparseL27csrsv_analysis_lower_kernelILj1024ELj32ELb0EliEEvT3_PKT2_PKS1_PS2_PiS7_PS1_21rocsparse_index_base_20rocsparse_diag_type_.uses_vcc, 1
	.set _ZN9rocsparseL27csrsv_analysis_lower_kernelILj1024ELj32ELb0EliEEvT3_PKT2_PKS1_PS2_PiS7_PS1_21rocsparse_index_base_20rocsparse_diag_type_.uses_flat_scratch, 0
	.set _ZN9rocsparseL27csrsv_analysis_lower_kernelILj1024ELj32ELb0EliEEvT3_PKT2_PKS1_PS2_PiS7_PS1_21rocsparse_index_base_20rocsparse_diag_type_.has_dyn_sized_stack, 0
	.set _ZN9rocsparseL27csrsv_analysis_lower_kernelILj1024ELj32ELb0EliEEvT3_PKT2_PKS1_PS2_PiS7_PS1_21rocsparse_index_base_20rocsparse_diag_type_.has_recursion, 0
	.set _ZN9rocsparseL27csrsv_analysis_lower_kernelILj1024ELj32ELb0EliEEvT3_PKT2_PKS1_PS2_PiS7_PS1_21rocsparse_index_base_20rocsparse_diag_type_.has_indirect_call, 0
	.section	.AMDGPU.csdata,"",@progbits
; Kernel info:
; codeLenInByte = 1032
; TotalNumSgprs: 33
; NumVgprs: 18
; ScratchSize: 0
; MemoryBound: 0
; FloatMode: 240
; IeeeMode: 1
; LDSByteSize: 128 bytes/workgroup (compile time only)
; SGPRBlocks: 4
; VGPRBlocks: 4
; NumSGPRsForWavesPerEU: 33
; NumVGPRsForWavesPerEU: 18
; Occupancy: 10
; WaveLimiterHint : 1
; COMPUTE_PGM_RSRC2:SCRATCH_EN: 0
; COMPUTE_PGM_RSRC2:USER_SGPR: 6
; COMPUTE_PGM_RSRC2:TRAP_HANDLER: 0
; COMPUTE_PGM_RSRC2:TGID_X_EN: 1
; COMPUTE_PGM_RSRC2:TGID_Y_EN: 0
; COMPUTE_PGM_RSRC2:TGID_Z_EN: 0
; COMPUTE_PGM_RSRC2:TIDIG_COMP_CNT: 0
	.section	.text._ZN9rocsparseL27csrsv_analysis_upper_kernelILj1024ELj64ELb0EliEEvT3_PKT2_PKS1_PS2_PiS7_PS1_21rocsparse_index_base_20rocsparse_diag_type_,"axG",@progbits,_ZN9rocsparseL27csrsv_analysis_upper_kernelILj1024ELj64ELb0EliEEvT3_PKT2_PKS1_PS2_PiS7_PS1_21rocsparse_index_base_20rocsparse_diag_type_,comdat
	.globl	_ZN9rocsparseL27csrsv_analysis_upper_kernelILj1024ELj64ELb0EliEEvT3_PKT2_PKS1_PS2_PiS7_PS1_21rocsparse_index_base_20rocsparse_diag_type_ ; -- Begin function _ZN9rocsparseL27csrsv_analysis_upper_kernelILj1024ELj64ELb0EliEEvT3_PKT2_PKS1_PS2_PiS7_PS1_21rocsparse_index_base_20rocsparse_diag_type_
	.p2align	8
	.type	_ZN9rocsparseL27csrsv_analysis_upper_kernelILj1024ELj64ELb0EliEEvT3_PKT2_PKS1_PS2_PiS7_PS1_21rocsparse_index_base_20rocsparse_diag_type_,@function
_ZN9rocsparseL27csrsv_analysis_upper_kernelILj1024ELj64ELb0EliEEvT3_PKT2_PKS1_PS2_PiS7_PS1_21rocsparse_index_base_20rocsparse_diag_type_: ; @_ZN9rocsparseL27csrsv_analysis_upper_kernelILj1024ELj64ELb0EliEEvT3_PKT2_PKS1_PS2_PiS7_PS1_21rocsparse_index_base_20rocsparse_diag_type_
; %bb.0:
	s_load_dword s28, s[4:5], 0x0
	s_lshl_b32 s29, s6, 4
	s_not_b32 s0, s29
	v_lshrrev_b32_e32 v2, 6, v0
	v_lshlrev_b32_e32 v12, 2, v2
	s_waitcnt lgkmcnt(0)
	s_add_i32 s30, s28, s0
	v_sub_u32_e32 v1, s30, v2
	v_mov_b32_e32 v2, 0
	v_cmp_lt_i32_e32 vcc, -1, v1
	ds_write_b32 v12, v2
	s_waitcnt lgkmcnt(0)
	s_barrier
	s_and_saveexec_b64 s[0:1], vcc
	s_cbranch_execz .LBB10_33
; %bb.1:
	s_load_dwordx2 s[0:1], s[4:5], 0x8
	s_load_dwordx4 s[8:11], s[4:5], 0x18
	v_and_b32_e32 v0, 63, v0
	v_lshlrev_b64 v[3:4], 3, v[1:2]
	v_cmp_eq_u32_e32 vcc, 0, v0
	s_and_saveexec_b64 s[2:3], vcc
	s_cbranch_execz .LBB10_3
; %bb.2:
	s_waitcnt lgkmcnt(0)
	v_mov_b32_e32 v6, s9
	v_add_co_u32_e32 v5, vcc, s8, v3
	v_mov_b32_e32 v7, -1
	v_addc_co_u32_e32 v6, vcc, v6, v4, vcc
	v_mov_b32_e32 v8, v7
	global_store_dwordx2 v[5:6], v[7:8], off
.LBB10_3:
	s_or_b64 exec, exec, s[2:3]
	s_waitcnt lgkmcnt(0)
	v_mov_b32_e32 v6, s1
	v_add_co_u32_e32 v5, vcc, s0, v3
	v_addc_co_u32_e32 v6, vcc, v6, v4, vcc
	global_load_dwordx4 v[5:8], v[5:6], off
	s_load_dwordx2 s[6:7], s[4:5], 0x38
	s_load_dwordx4 s[0:3], s[4:5], 0x28
	v_not_b32_e32 v9, v0
	v_ashrrev_i32_e32 v11, 31, v9
	v_mov_b32_e32 v17, 0
	s_waitcnt vmcnt(0) lgkmcnt(0)
	v_subrev_co_u32_e32 v5, vcc, s6, v5
	v_subbrev_co_u32_e32 v6, vcc, 0, v6, vcc
	v_subrev_co_u32_e32 v13, vcc, s6, v7
	v_subbrev_co_u32_e32 v14, vcc, 0, v8, vcc
	v_add_co_u32_e32 v10, vcc, v13, v9
	v_addc_co_u32_e32 v11, vcc, v14, v11, vcc
	v_cmp_ge_i64_e32 vcc, v[10:11], v[5:6]
	s_and_saveexec_b64 s[12:13], vcc
	s_cbranch_execz .LBB10_23
; %bb.4:
	s_load_dwordx2 s[4:5], s[4:5], 0x10
	v_mov_b32_e32 v17, 0
	s_mov_b64 s[14:15], 0
                                        ; implicit-def: $sgpr16_sgpr17
                                        ; implicit-def: $sgpr20_sgpr21
                                        ; implicit-def: $sgpr18_sgpr19
	s_waitcnt lgkmcnt(0)
	v_mov_b32_e32 v16, s5
	s_branch .LBB10_7
.LBB10_5:                               ;   in Loop: Header=BB10_7 Depth=1
	s_or_b64 exec, exec, s[24:25]
	v_add_co_u32_e32 v10, vcc, 0xffffffc0, v7
	v_addc_co_u32_e32 v11, vcc, -1, v8, vcc
	v_cmp_lt_i64_e32 vcc, v[10:11], v[5:6]
	s_andn2_b64 s[20:21], s[20:21], exec
	s_and_b64 s[24:25], vcc, exec
	v_max_i32_e32 v17, v17, v15
	s_andn2_b64 s[18:19], s[18:19], exec
	s_or_b64 s[20:21], s[20:21], s[24:25]
.LBB10_6:                               ;   in Loop: Header=BB10_7 Depth=1
	s_or_b64 exec, exec, s[22:23]
	s_and_b64 s[22:23], exec, s[20:21]
	s_or_b64 s[14:15], s[22:23], s[14:15]
	s_andn2_b64 s[16:17], s[16:17], exec
	s_and_b64 s[22:23], s[18:19], exec
	s_or_b64 s[16:17], s[16:17], s[22:23]
	s_andn2_b64 exec, exec, s[14:15]
	s_cbranch_execz .LBB10_12
.LBB10_7:                               ; =>This Loop Header: Depth=1
                                        ;     Child Loop BB10_10 Depth 2
	v_mov_b32_e32 v7, v10
	v_mov_b32_e32 v8, v11
	v_lshlrev_b64 v[9:10], 2, v[7:8]
	v_mov_b32_e32 v15, v17
	v_add_co_u32_e32 v9, vcc, s4, v9
	v_addc_co_u32_e32 v10, vcc, v16, v10, vcc
	global_load_dword v9, v[9:10], off glc slc
	s_or_b64 s[18:19], s[18:19], exec
	s_or_b64 s[20:21], s[20:21], exec
                                        ; implicit-def: $vgpr10_vgpr11
                                        ; implicit-def: $vgpr17
	s_waitcnt vmcnt(0)
	v_subrev_u32_e32 v9, s6, v9
	v_cmp_lt_i32_e32 vcc, s30, v9
	s_and_saveexec_b64 s[22:23], vcc
	s_cbranch_execz .LBB10_6
; %bb.8:                                ;   in Loop: Header=BB10_7 Depth=1
	v_ashrrev_i32_e32 v10, 31, v9
	v_lshlrev_b64 v[10:11], 2, v[9:10]
	v_mov_b32_e32 v17, s11
	v_add_co_u32_e32 v10, vcc, s10, v10
	v_addc_co_u32_e32 v11, vcc, v17, v11, vcc
	global_load_dword v17, v[10:11], off glc
	s_waitcnt vmcnt(0)
	v_cmp_eq_u32_e32 vcc, 0, v17
	s_and_saveexec_b64 s[24:25], vcc
	s_cbranch_execz .LBB10_5
; %bb.9:                                ;   in Loop: Header=BB10_7 Depth=1
	s_mov_b64 s[26:27], 0
.LBB10_10:                              ;   Parent Loop BB10_7 Depth=1
                                        ; =>  This Inner Loop Header: Depth=2
	global_load_dword v17, v[10:11], off glc
	s_waitcnt vmcnt(0)
	v_cmp_ne_u32_e32 vcc, 0, v17
	s_or_b64 s[26:27], vcc, s[26:27]
	s_andn2_b64 exec, exec, s[26:27]
	s_cbranch_execnz .LBB10_10
; %bb.11:                               ;   in Loop: Header=BB10_7 Depth=1
	s_or_b64 exec, exec, s[26:27]
	s_branch .LBB10_5
.LBB10_12:
	s_or_b64 exec, exec, s[14:15]
	s_and_saveexec_b64 s[4:5], s[16:17]
	s_xor_b64 s[4:5], exec, s[4:5]
	s_cbranch_execz .LBB10_22
; %bb.13:
	v_cmp_eq_u32_e32 vcc, v9, v1
	s_and_saveexec_b64 s[14:15], vcc
	s_cbranch_execz .LBB10_15
; %bb.14:
	v_mov_b32_e32 v11, s9
	v_add_co_u32_e32 v10, vcc, s8, v3
	v_addc_co_u32_e32 v11, vcc, v11, v4, vcc
	global_store_dwordx2 v[10:11], v[7:8], off
.LBB10_15:
	s_or_b64 exec, exec, s[14:15]
	v_cmp_gt_i32_e32 vcc, v9, v1
	s_and_saveexec_b64 s[14:15], vcc
	s_cbranch_execz .LBB10_21
; %bb.16:
	s_xor_b32 s16, s29, 0x3ffffff0
	s_add_i32 s28, s28, s16
	v_sub_u32_e32 v7, s28, v9
	v_lshlrev_b32_e32 v8, 2, v7
	ds_read_b32 v7, v8 offset:60
	s_waitcnt lgkmcnt(0)
	v_cmp_eq_u32_e32 vcc, 0, v7
	s_and_saveexec_b64 s[16:17], vcc
	s_cbranch_execz .LBB10_20
; %bb.17:
	s_mov_b64 s[18:19], 0
.LBB10_18:                              ; =>This Inner Loop Header: Depth=1
	ds_read_b32 v7, v8 offset:60
	s_waitcnt lgkmcnt(0)
	v_cmp_ne_u32_e32 vcc, 0, v7
	s_or_b64 s[18:19], vcc, s[18:19]
	s_andn2_b64 exec, exec, s[18:19]
	s_cbranch_execnz .LBB10_18
; %bb.19:
	s_or_b64 exec, exec, s[18:19]
.LBB10_20:
	s_or_b64 exec, exec, s[16:17]
	v_max_i32_e32 v15, v7, v15
.LBB10_21:
	s_or_b64 exec, exec, s[14:15]
	v_mov_b32_e32 v17, v15
.LBB10_22:
	s_or_b64 exec, exec, s[4:5]
.LBB10_23:
	s_or_b64 exec, exec, s[12:13]
	v_mov_b32_dpp v7, v17 row_shr:1 row_mask:0xf bank_mask:0xf
	v_max_i32_e32 v7, v17, v7
	v_cmp_eq_u32_e32 vcc, 63, v0
	s_nop 0
	v_mov_b32_dpp v8, v7 row_shr:2 row_mask:0xf bank_mask:0xf
	v_max_i32_e32 v7, v7, v8
	s_nop 1
	v_mov_b32_dpp v8, v7 row_shr:4 row_mask:0xf bank_mask:0xe
	v_max_i32_e32 v7, v7, v8
	;; [unrolled: 3-line block ×3, first 2 shown]
	s_nop 1
	v_mov_b32_dpp v8, v7 row_bcast:15 row_mask:0xa bank_mask:0xf
	v_max_i32_e32 v7, v7, v8
	s_nop 1
	v_mov_b32_dpp v8, v7 row_bcast:31 row_mask:0xc bank_mask:0xf
	s_and_b64 exec, exec, vcc
	s_cbranch_execz .LBB10_33
; %bb.24:
	v_max_i32_e32 v0, v7, v8
	v_lshlrev_b64 v[7:8], 2, v[1:2]
	v_mov_b32_e32 v2, s11
	v_add_co_u32_e32 v7, vcc, s10, v7
	v_add_u32_e32 v0, 1, v0
	v_addc_co_u32_e32 v8, vcc, v2, v8, vcc
	ds_write_b32 v12, v0
	global_store_dword v[7:8], v0, off
	v_sub_co_u32_e32 v0, vcc, v13, v5
	s_mov_b64 s[4:5], exec
	v_subb_co_u32_e32 v2, vcc, v14, v6, vcc
	s_mov_b64 s[10:11], 0
.LBB10_25:                              ; =>This Inner Loop Header: Depth=1
	s_ff1_i32_b64 s14, s[4:5]
	v_readlane_b32 s15, v2, s14
	v_readlane_b32 s16, v0, s14
	v_mov_b32_e32 v5, s16
	v_mov_b32_e32 v6, s15
	v_cmp_gt_u64_e32 vcc, s[10:11], v[5:6]
	s_and_b64 s[12:13], vcc, exec
	s_cselect_b32 s11, s11, s15
	s_cselect_b32 s10, s10, s16
	s_lshl_b64 s[12:13], 1, s14
	s_andn2_b64 s[4:5], s[4:5], s[12:13]
	s_cmp_lg_u64 s[4:5], 0
	s_cbranch_scc1 .LBB10_25
; %bb.26:
	v_mbcnt_lo_u32_b32 v0, exec_lo, 0
	v_mbcnt_hi_u32_b32 v0, exec_hi, v0
	v_cmp_eq_u32_e32 vcc, 0, v0
	s_and_saveexec_b64 s[4:5], vcc
	s_xor_b64 s[4:5], exec, s[4:5]
	s_cbranch_execz .LBB10_28
; %bb.27:
	v_mov_b32_e32 v5, s10
	v_mov_b32_e32 v0, 0
	;; [unrolled: 1-line block ×3, first 2 shown]
	global_atomic_umax_x2 v0, v[5:6], s[0:1]
.LBB10_28:
	s_or_b64 exec, exec, s[4:5]
	v_mov_b32_e32 v0, s9
	v_add_co_u32_e32 v2, vcc, s8, v3
	v_addc_co_u32_e32 v3, vcc, v0, v4, vcc
	global_load_dwordx2 v[2:3], v[2:3], off
	s_cmp_eq_u32 s7, 0
	s_cselect_b64 s[0:1], -1, 0
	s_waitcnt vmcnt(0)
	v_cmp_eq_u64_e32 vcc, -1, v[2:3]
	s_and_b64 s[0:1], s[0:1], vcc
	s_and_b64 exec, exec, s[0:1]
	s_cbranch_execz .LBB10_33
; %bb.29:
	s_mov_b64 s[0:1], exec
	v_add_u32_e32 v0, s6, v1
	s_brev_b32 s4, -2
.LBB10_30:                              ; =>This Inner Loop Header: Depth=1
	s_ff1_i32_b64 s5, s[0:1]
	v_readlane_b32 s8, v0, s5
	s_lshl_b64 s[6:7], 1, s5
	s_min_i32 s4, s4, s8
	s_andn2_b64 s[0:1], s[0:1], s[6:7]
	s_cmp_lg_u64 s[0:1], 0
	s_cbranch_scc1 .LBB10_30
; %bb.31:
	v_mbcnt_lo_u32_b32 v0, exec_lo, 0
	v_mbcnt_hi_u32_b32 v0, exec_hi, v0
	v_cmp_eq_u32_e32 vcc, 0, v0
	s_and_saveexec_b64 s[0:1], vcc
	s_xor_b64 s[0:1], exec, s[0:1]
	s_cbranch_execz .LBB10_33
; %bb.32:
	v_mov_b32_e32 v0, 0
	v_mov_b32_e32 v1, s4
	global_atomic_smin v0, v1, s[2:3]
.LBB10_33:
	s_endpgm
	.section	.rodata,"a",@progbits
	.p2align	6, 0x0
	.amdhsa_kernel _ZN9rocsparseL27csrsv_analysis_upper_kernelILj1024ELj64ELb0EliEEvT3_PKT2_PKS1_PS2_PiS7_PS1_21rocsparse_index_base_20rocsparse_diag_type_
		.amdhsa_group_segment_fixed_size 64
		.amdhsa_private_segment_fixed_size 0
		.amdhsa_kernarg_size 64
		.amdhsa_user_sgpr_count 6
		.amdhsa_user_sgpr_private_segment_buffer 1
		.amdhsa_user_sgpr_dispatch_ptr 0
		.amdhsa_user_sgpr_queue_ptr 0
		.amdhsa_user_sgpr_kernarg_segment_ptr 1
		.amdhsa_user_sgpr_dispatch_id 0
		.amdhsa_user_sgpr_flat_scratch_init 0
		.amdhsa_user_sgpr_private_segment_size 0
		.amdhsa_uses_dynamic_stack 0
		.amdhsa_system_sgpr_private_segment_wavefront_offset 0
		.amdhsa_system_sgpr_workgroup_id_x 1
		.amdhsa_system_sgpr_workgroup_id_y 0
		.amdhsa_system_sgpr_workgroup_id_z 0
		.amdhsa_system_sgpr_workgroup_info 0
		.amdhsa_system_vgpr_workitem_id 0
		.amdhsa_next_free_vgpr 18
		.amdhsa_next_free_sgpr 31
		.amdhsa_reserve_vcc 1
		.amdhsa_reserve_flat_scratch 0
		.amdhsa_float_round_mode_32 0
		.amdhsa_float_round_mode_16_64 0
		.amdhsa_float_denorm_mode_32 3
		.amdhsa_float_denorm_mode_16_64 3
		.amdhsa_dx10_clamp 1
		.amdhsa_ieee_mode 1
		.amdhsa_fp16_overflow 0
		.amdhsa_exception_fp_ieee_invalid_op 0
		.amdhsa_exception_fp_denorm_src 0
		.amdhsa_exception_fp_ieee_div_zero 0
		.amdhsa_exception_fp_ieee_overflow 0
		.amdhsa_exception_fp_ieee_underflow 0
		.amdhsa_exception_fp_ieee_inexact 0
		.amdhsa_exception_int_div_zero 0
	.end_amdhsa_kernel
	.section	.text._ZN9rocsparseL27csrsv_analysis_upper_kernelILj1024ELj64ELb0EliEEvT3_PKT2_PKS1_PS2_PiS7_PS1_21rocsparse_index_base_20rocsparse_diag_type_,"axG",@progbits,_ZN9rocsparseL27csrsv_analysis_upper_kernelILj1024ELj64ELb0EliEEvT3_PKT2_PKS1_PS2_PiS7_PS1_21rocsparse_index_base_20rocsparse_diag_type_,comdat
.Lfunc_end10:
	.size	_ZN9rocsparseL27csrsv_analysis_upper_kernelILj1024ELj64ELb0EliEEvT3_PKT2_PKS1_PS2_PiS7_PS1_21rocsparse_index_base_20rocsparse_diag_type_, .Lfunc_end10-_ZN9rocsparseL27csrsv_analysis_upper_kernelILj1024ELj64ELb0EliEEvT3_PKT2_PKS1_PS2_PiS7_PS1_21rocsparse_index_base_20rocsparse_diag_type_
                                        ; -- End function
	.set _ZN9rocsparseL27csrsv_analysis_upper_kernelILj1024ELj64ELb0EliEEvT3_PKT2_PKS1_PS2_PiS7_PS1_21rocsparse_index_base_20rocsparse_diag_type_.num_vgpr, 18
	.set _ZN9rocsparseL27csrsv_analysis_upper_kernelILj1024ELj64ELb0EliEEvT3_PKT2_PKS1_PS2_PiS7_PS1_21rocsparse_index_base_20rocsparse_diag_type_.num_agpr, 0
	.set _ZN9rocsparseL27csrsv_analysis_upper_kernelILj1024ELj64ELb0EliEEvT3_PKT2_PKS1_PS2_PiS7_PS1_21rocsparse_index_base_20rocsparse_diag_type_.numbered_sgpr, 31
	.set _ZN9rocsparseL27csrsv_analysis_upper_kernelILj1024ELj64ELb0EliEEvT3_PKT2_PKS1_PS2_PiS7_PS1_21rocsparse_index_base_20rocsparse_diag_type_.num_named_barrier, 0
	.set _ZN9rocsparseL27csrsv_analysis_upper_kernelILj1024ELj64ELb0EliEEvT3_PKT2_PKS1_PS2_PiS7_PS1_21rocsparse_index_base_20rocsparse_diag_type_.private_seg_size, 0
	.set _ZN9rocsparseL27csrsv_analysis_upper_kernelILj1024ELj64ELb0EliEEvT3_PKT2_PKS1_PS2_PiS7_PS1_21rocsparse_index_base_20rocsparse_diag_type_.uses_vcc, 1
	.set _ZN9rocsparseL27csrsv_analysis_upper_kernelILj1024ELj64ELb0EliEEvT3_PKT2_PKS1_PS2_PiS7_PS1_21rocsparse_index_base_20rocsparse_diag_type_.uses_flat_scratch, 0
	.set _ZN9rocsparseL27csrsv_analysis_upper_kernelILj1024ELj64ELb0EliEEvT3_PKT2_PKS1_PS2_PiS7_PS1_21rocsparse_index_base_20rocsparse_diag_type_.has_dyn_sized_stack, 0
	.set _ZN9rocsparseL27csrsv_analysis_upper_kernelILj1024ELj64ELb0EliEEvT3_PKT2_PKS1_PS2_PiS7_PS1_21rocsparse_index_base_20rocsparse_diag_type_.has_recursion, 0
	.set _ZN9rocsparseL27csrsv_analysis_upper_kernelILj1024ELj64ELb0EliEEvT3_PKT2_PKS1_PS2_PiS7_PS1_21rocsparse_index_base_20rocsparse_diag_type_.has_indirect_call, 0
	.section	.AMDGPU.csdata,"",@progbits
; Kernel info:
; codeLenInByte = 1076
; TotalNumSgprs: 35
; NumVgprs: 18
; ScratchSize: 0
; MemoryBound: 0
; FloatMode: 240
; IeeeMode: 1
; LDSByteSize: 64 bytes/workgroup (compile time only)
; SGPRBlocks: 4
; VGPRBlocks: 4
; NumSGPRsForWavesPerEU: 35
; NumVGPRsForWavesPerEU: 18
; Occupancy: 10
; WaveLimiterHint : 1
; COMPUTE_PGM_RSRC2:SCRATCH_EN: 0
; COMPUTE_PGM_RSRC2:USER_SGPR: 6
; COMPUTE_PGM_RSRC2:TRAP_HANDLER: 0
; COMPUTE_PGM_RSRC2:TGID_X_EN: 1
; COMPUTE_PGM_RSRC2:TGID_Y_EN: 0
; COMPUTE_PGM_RSRC2:TGID_Z_EN: 0
; COMPUTE_PGM_RSRC2:TIDIG_COMP_CNT: 0
	.section	.text._ZN9rocsparseL27csrsv_analysis_lower_kernelILj1024ELj64ELb0EliEEvT3_PKT2_PKS1_PS2_PiS7_PS1_21rocsparse_index_base_20rocsparse_diag_type_,"axG",@progbits,_ZN9rocsparseL27csrsv_analysis_lower_kernelILj1024ELj64ELb0EliEEvT3_PKT2_PKS1_PS2_PiS7_PS1_21rocsparse_index_base_20rocsparse_diag_type_,comdat
	.globl	_ZN9rocsparseL27csrsv_analysis_lower_kernelILj1024ELj64ELb0EliEEvT3_PKT2_PKS1_PS2_PiS7_PS1_21rocsparse_index_base_20rocsparse_diag_type_ ; -- Begin function _ZN9rocsparseL27csrsv_analysis_lower_kernelILj1024ELj64ELb0EliEEvT3_PKT2_PKS1_PS2_PiS7_PS1_21rocsparse_index_base_20rocsparse_diag_type_
	.p2align	8
	.type	_ZN9rocsparseL27csrsv_analysis_lower_kernelILj1024ELj64ELb0EliEEvT3_PKT2_PKS1_PS2_PiS7_PS1_21rocsparse_index_base_20rocsparse_diag_type_,@function
_ZN9rocsparseL27csrsv_analysis_lower_kernelILj1024ELj64ELb0EliEEvT3_PKT2_PKS1_PS2_PiS7_PS1_21rocsparse_index_base_20rocsparse_diag_type_: ; @_ZN9rocsparseL27csrsv_analysis_lower_kernelILj1024ELj64ELb0EliEEvT3_PKT2_PKS1_PS2_PiS7_PS1_21rocsparse_index_base_20rocsparse_diag_type_
; %bb.0:
	s_load_dword s0, s[4:5], 0x0
	v_lshrrev_b32_e32 v2, 6, v0
	s_lshl_b32 s28, s6, 4
	v_or_b32_e32 v1, s28, v2
	v_lshlrev_b32_e32 v12, 2, v2
	v_mov_b32_e32 v2, 0
	s_waitcnt lgkmcnt(0)
	v_cmp_gt_i32_e32 vcc, s0, v1
	ds_write_b32 v12, v2
	s_waitcnt lgkmcnt(0)
	s_barrier
	s_and_saveexec_b64 s[0:1], vcc
	s_cbranch_execz .LBB11_33
; %bb.1:
	s_load_dwordx2 s[0:1], s[4:5], 0x8
	s_load_dwordx4 s[8:11], s[4:5], 0x18
	v_ashrrev_i32_e32 v2, 31, v1
	v_and_b32_e32 v0, 63, v0
	v_lshlrev_b64 v[3:4], 3, v[1:2]
	v_cmp_eq_u32_e32 vcc, 0, v0
	s_and_saveexec_b64 s[2:3], vcc
	s_cbranch_execz .LBB11_3
; %bb.2:
	s_waitcnt lgkmcnt(0)
	v_mov_b32_e32 v6, s9
	v_add_co_u32_e32 v5, vcc, s8, v3
	v_mov_b32_e32 v7, -1
	v_addc_co_u32_e32 v6, vcc, v6, v4, vcc
	v_mov_b32_e32 v8, v7
	global_store_dwordx2 v[5:6], v[7:8], off
.LBB11_3:
	s_or_b64 exec, exec, s[2:3]
	s_waitcnt lgkmcnt(0)
	v_mov_b32_e32 v6, s1
	v_add_co_u32_e32 v5, vcc, s0, v3
	v_addc_co_u32_e32 v6, vcc, v6, v4, vcc
	global_load_dwordx4 v[5:8], v[5:6], off
	s_load_dwordx2 s[6:7], s[4:5], 0x38
	s_load_dwordx4 s[0:3], s[4:5], 0x28
	v_mov_b32_e32 v17, 0
	s_waitcnt vmcnt(0) lgkmcnt(0)
	v_subrev_co_u32_e32 v13, vcc, s6, v5
	v_subbrev_co_u32_e32 v14, vcc, 0, v6, vcc
	v_subrev_co_u32_e32 v5, vcc, s6, v7
	v_subbrev_co_u32_e32 v6, vcc, 0, v8, vcc
	v_add_co_u32_e32 v10, vcc, v13, v0
	v_addc_co_u32_e32 v11, vcc, 0, v14, vcc
	v_cmp_lt_i64_e32 vcc, v[10:11], v[5:6]
	s_and_saveexec_b64 s[12:13], vcc
	s_cbranch_execz .LBB11_23
; %bb.4:
	s_load_dwordx2 s[4:5], s[4:5], 0x10
	v_mov_b32_e32 v17, 0
	s_mov_b64 s[14:15], 0
                                        ; implicit-def: $sgpr16_sgpr17
                                        ; implicit-def: $sgpr20_sgpr21
                                        ; implicit-def: $sgpr18_sgpr19
	s_waitcnt lgkmcnt(0)
	v_mov_b32_e32 v16, s5
	s_branch .LBB11_7
.LBB11_5:                               ;   in Loop: Header=BB11_7 Depth=1
	s_or_b64 exec, exec, s[24:25]
	v_add_co_u32_e32 v10, vcc, 64, v7
	v_addc_co_u32_e32 v11, vcc, 0, v8, vcc
	v_cmp_ge_i64_e32 vcc, v[10:11], v[5:6]
	s_andn2_b64 s[20:21], s[20:21], exec
	s_and_b64 s[24:25], vcc, exec
	v_max_i32_e32 v17, v17, v15
	s_andn2_b64 s[18:19], s[18:19], exec
	s_or_b64 s[20:21], s[20:21], s[24:25]
.LBB11_6:                               ;   in Loop: Header=BB11_7 Depth=1
	s_or_b64 exec, exec, s[22:23]
	s_and_b64 s[22:23], exec, s[20:21]
	s_or_b64 s[14:15], s[22:23], s[14:15]
	s_andn2_b64 s[16:17], s[16:17], exec
	s_and_b64 s[22:23], s[18:19], exec
	s_or_b64 s[16:17], s[16:17], s[22:23]
	s_andn2_b64 exec, exec, s[14:15]
	s_cbranch_execz .LBB11_12
.LBB11_7:                               ; =>This Loop Header: Depth=1
                                        ;     Child Loop BB11_10 Depth 2
	v_mov_b32_e32 v7, v10
	v_mov_b32_e32 v8, v11
	v_lshlrev_b64 v[9:10], 2, v[7:8]
	v_mov_b32_e32 v15, v17
	v_add_co_u32_e32 v9, vcc, s4, v9
	v_addc_co_u32_e32 v10, vcc, v16, v10, vcc
	global_load_dword v9, v[9:10], off glc slc
	s_or_b64 s[18:19], s[18:19], exec
	s_or_b64 s[20:21], s[20:21], exec
                                        ; implicit-def: $vgpr10_vgpr11
                                        ; implicit-def: $vgpr17
	s_waitcnt vmcnt(0)
	v_subrev_u32_e32 v9, s6, v9
	v_cmp_gt_i32_e32 vcc, s28, v9
	s_and_saveexec_b64 s[22:23], vcc
	s_cbranch_execz .LBB11_6
; %bb.8:                                ;   in Loop: Header=BB11_7 Depth=1
	v_ashrrev_i32_e32 v10, 31, v9
	v_lshlrev_b64 v[10:11], 2, v[9:10]
	v_mov_b32_e32 v17, s11
	v_add_co_u32_e32 v10, vcc, s10, v10
	v_addc_co_u32_e32 v11, vcc, v17, v11, vcc
	global_load_dword v17, v[10:11], off glc
	s_waitcnt vmcnt(0)
	v_cmp_eq_u32_e32 vcc, 0, v17
	s_and_saveexec_b64 s[24:25], vcc
	s_cbranch_execz .LBB11_5
; %bb.9:                                ;   in Loop: Header=BB11_7 Depth=1
	s_mov_b64 s[26:27], 0
.LBB11_10:                              ;   Parent Loop BB11_7 Depth=1
                                        ; =>  This Inner Loop Header: Depth=2
	global_load_dword v17, v[10:11], off glc
	s_waitcnt vmcnt(0)
	v_cmp_ne_u32_e32 vcc, 0, v17
	s_or_b64 s[26:27], vcc, s[26:27]
	s_andn2_b64 exec, exec, s[26:27]
	s_cbranch_execnz .LBB11_10
; %bb.11:                               ;   in Loop: Header=BB11_7 Depth=1
	s_or_b64 exec, exec, s[26:27]
	s_branch .LBB11_5
.LBB11_12:
	s_or_b64 exec, exec, s[14:15]
	s_and_saveexec_b64 s[4:5], s[16:17]
	s_xor_b64 s[4:5], exec, s[4:5]
	s_cbranch_execz .LBB11_22
; %bb.13:
	v_cmp_eq_u32_e32 vcc, v9, v1
	s_and_saveexec_b64 s[14:15], vcc
	s_cbranch_execz .LBB11_15
; %bb.14:
	v_mov_b32_e32 v11, s9
	v_add_co_u32_e32 v10, vcc, s8, v3
	v_addc_co_u32_e32 v11, vcc, v11, v4, vcc
	global_store_dwordx2 v[10:11], v[7:8], off
.LBB11_15:
	s_or_b64 exec, exec, s[14:15]
	v_cmp_lt_i32_e32 vcc, v9, v1
	s_and_saveexec_b64 s[14:15], vcc
	s_cbranch_execz .LBB11_21
; %bb.16:
	v_subrev_u32_e32 v7, s28, v9
	v_lshlrev_b32_e32 v8, 2, v7
	ds_read_b32 v7, v8
	s_waitcnt lgkmcnt(0)
	v_cmp_eq_u32_e32 vcc, 0, v7
	s_and_saveexec_b64 s[16:17], vcc
	s_cbranch_execz .LBB11_20
; %bb.17:
	s_mov_b64 s[18:19], 0
.LBB11_18:                              ; =>This Inner Loop Header: Depth=1
	ds_read_b32 v7, v8
	s_waitcnt lgkmcnt(0)
	v_cmp_ne_u32_e32 vcc, 0, v7
	s_or_b64 s[18:19], vcc, s[18:19]
	s_andn2_b64 exec, exec, s[18:19]
	s_cbranch_execnz .LBB11_18
; %bb.19:
	s_or_b64 exec, exec, s[18:19]
.LBB11_20:
	s_or_b64 exec, exec, s[16:17]
	v_max_i32_e32 v15, v7, v15
.LBB11_21:
	s_or_b64 exec, exec, s[14:15]
	v_mov_b32_e32 v17, v15
.LBB11_22:
	s_or_b64 exec, exec, s[4:5]
.LBB11_23:
	s_or_b64 exec, exec, s[12:13]
	v_mov_b32_dpp v7, v17 row_shr:1 row_mask:0xf bank_mask:0xf
	v_max_i32_e32 v7, v17, v7
	v_cmp_eq_u32_e32 vcc, 63, v0
	s_nop 0
	v_mov_b32_dpp v8, v7 row_shr:2 row_mask:0xf bank_mask:0xf
	v_max_i32_e32 v7, v7, v8
	s_nop 1
	v_mov_b32_dpp v8, v7 row_shr:4 row_mask:0xf bank_mask:0xe
	v_max_i32_e32 v7, v7, v8
	;; [unrolled: 3-line block ×3, first 2 shown]
	s_nop 1
	v_mov_b32_dpp v8, v7 row_bcast:15 row_mask:0xa bank_mask:0xf
	v_max_i32_e32 v7, v7, v8
	s_nop 1
	v_mov_b32_dpp v8, v7 row_bcast:31 row_mask:0xc bank_mask:0xf
	s_and_b64 exec, exec, vcc
	s_cbranch_execz .LBB11_33
; %bb.24:
	v_max_i32_e32 v0, v7, v8
	v_lshlrev_b64 v[7:8], 2, v[1:2]
	v_mov_b32_e32 v2, s11
	v_add_co_u32_e32 v7, vcc, s10, v7
	v_add_u32_e32 v0, 1, v0
	v_addc_co_u32_e32 v8, vcc, v2, v8, vcc
	ds_write_b32 v12, v0
	global_store_dword v[7:8], v0, off
	v_sub_co_u32_e32 v0, vcc, v5, v13
	s_mov_b64 s[4:5], exec
	v_subb_co_u32_e32 v2, vcc, v6, v14, vcc
	s_mov_b64 s[10:11], 0
.LBB11_25:                              ; =>This Inner Loop Header: Depth=1
	s_ff1_i32_b64 s14, s[4:5]
	v_readlane_b32 s15, v2, s14
	v_readlane_b32 s16, v0, s14
	v_mov_b32_e32 v5, s16
	v_mov_b32_e32 v6, s15
	v_cmp_gt_u64_e32 vcc, s[10:11], v[5:6]
	s_and_b64 s[12:13], vcc, exec
	s_cselect_b32 s11, s11, s15
	s_cselect_b32 s10, s10, s16
	s_lshl_b64 s[12:13], 1, s14
	s_andn2_b64 s[4:5], s[4:5], s[12:13]
	s_cmp_lg_u64 s[4:5], 0
	s_cbranch_scc1 .LBB11_25
; %bb.26:
	v_mbcnt_lo_u32_b32 v0, exec_lo, 0
	v_mbcnt_hi_u32_b32 v0, exec_hi, v0
	v_cmp_eq_u32_e32 vcc, 0, v0
	s_and_saveexec_b64 s[4:5], vcc
	s_xor_b64 s[4:5], exec, s[4:5]
	s_cbranch_execz .LBB11_28
; %bb.27:
	v_mov_b32_e32 v5, s10
	v_mov_b32_e32 v0, 0
	;; [unrolled: 1-line block ×3, first 2 shown]
	global_atomic_umax_x2 v0, v[5:6], s[0:1]
.LBB11_28:
	s_or_b64 exec, exec, s[4:5]
	v_mov_b32_e32 v0, s9
	v_add_co_u32_e32 v2, vcc, s8, v3
	v_addc_co_u32_e32 v3, vcc, v0, v4, vcc
	global_load_dwordx2 v[2:3], v[2:3], off
	s_cmp_eq_u32 s7, 0
	s_cselect_b64 s[0:1], -1, 0
	s_waitcnt vmcnt(0)
	v_cmp_eq_u64_e32 vcc, -1, v[2:3]
	s_and_b64 s[0:1], s[0:1], vcc
	s_and_b64 exec, exec, s[0:1]
	s_cbranch_execz .LBB11_33
; %bb.29:
	s_mov_b64 s[0:1], exec
	v_add_u32_e32 v0, s6, v1
	s_brev_b32 s4, -2
.LBB11_30:                              ; =>This Inner Loop Header: Depth=1
	s_ff1_i32_b64 s5, s[0:1]
	v_readlane_b32 s8, v0, s5
	s_lshl_b64 s[6:7], 1, s5
	s_min_i32 s4, s4, s8
	s_andn2_b64 s[0:1], s[0:1], s[6:7]
	s_cmp_lg_u64 s[0:1], 0
	s_cbranch_scc1 .LBB11_30
; %bb.31:
	v_mbcnt_lo_u32_b32 v0, exec_lo, 0
	v_mbcnt_hi_u32_b32 v0, exec_hi, v0
	v_cmp_eq_u32_e32 vcc, 0, v0
	s_and_saveexec_b64 s[0:1], vcc
	s_xor_b64 s[0:1], exec, s[0:1]
	s_cbranch_execz .LBB11_33
; %bb.32:
	v_mov_b32_e32 v0, 0
	v_mov_b32_e32 v1, s4
	global_atomic_smin v0, v1, s[2:3]
.LBB11_33:
	s_endpgm
	.section	.rodata,"a",@progbits
	.p2align	6, 0x0
	.amdhsa_kernel _ZN9rocsparseL27csrsv_analysis_lower_kernelILj1024ELj64ELb0EliEEvT3_PKT2_PKS1_PS2_PiS7_PS1_21rocsparse_index_base_20rocsparse_diag_type_
		.amdhsa_group_segment_fixed_size 64
		.amdhsa_private_segment_fixed_size 0
		.amdhsa_kernarg_size 64
		.amdhsa_user_sgpr_count 6
		.amdhsa_user_sgpr_private_segment_buffer 1
		.amdhsa_user_sgpr_dispatch_ptr 0
		.amdhsa_user_sgpr_queue_ptr 0
		.amdhsa_user_sgpr_kernarg_segment_ptr 1
		.amdhsa_user_sgpr_dispatch_id 0
		.amdhsa_user_sgpr_flat_scratch_init 0
		.amdhsa_user_sgpr_private_segment_size 0
		.amdhsa_uses_dynamic_stack 0
		.amdhsa_system_sgpr_private_segment_wavefront_offset 0
		.amdhsa_system_sgpr_workgroup_id_x 1
		.amdhsa_system_sgpr_workgroup_id_y 0
		.amdhsa_system_sgpr_workgroup_id_z 0
		.amdhsa_system_sgpr_workgroup_info 0
		.amdhsa_system_vgpr_workitem_id 0
		.amdhsa_next_free_vgpr 18
		.amdhsa_next_free_sgpr 29
		.amdhsa_reserve_vcc 1
		.amdhsa_reserve_flat_scratch 0
		.amdhsa_float_round_mode_32 0
		.amdhsa_float_round_mode_16_64 0
		.amdhsa_float_denorm_mode_32 3
		.amdhsa_float_denorm_mode_16_64 3
		.amdhsa_dx10_clamp 1
		.amdhsa_ieee_mode 1
		.amdhsa_fp16_overflow 0
		.amdhsa_exception_fp_ieee_invalid_op 0
		.amdhsa_exception_fp_denorm_src 0
		.amdhsa_exception_fp_ieee_div_zero 0
		.amdhsa_exception_fp_ieee_overflow 0
		.amdhsa_exception_fp_ieee_underflow 0
		.amdhsa_exception_fp_ieee_inexact 0
		.amdhsa_exception_int_div_zero 0
	.end_amdhsa_kernel
	.section	.text._ZN9rocsparseL27csrsv_analysis_lower_kernelILj1024ELj64ELb0EliEEvT3_PKT2_PKS1_PS2_PiS7_PS1_21rocsparse_index_base_20rocsparse_diag_type_,"axG",@progbits,_ZN9rocsparseL27csrsv_analysis_lower_kernelILj1024ELj64ELb0EliEEvT3_PKT2_PKS1_PS2_PiS7_PS1_21rocsparse_index_base_20rocsparse_diag_type_,comdat
.Lfunc_end11:
	.size	_ZN9rocsparseL27csrsv_analysis_lower_kernelILj1024ELj64ELb0EliEEvT3_PKT2_PKS1_PS2_PiS7_PS1_21rocsparse_index_base_20rocsparse_diag_type_, .Lfunc_end11-_ZN9rocsparseL27csrsv_analysis_lower_kernelILj1024ELj64ELb0EliEEvT3_PKT2_PKS1_PS2_PiS7_PS1_21rocsparse_index_base_20rocsparse_diag_type_
                                        ; -- End function
	.set _ZN9rocsparseL27csrsv_analysis_lower_kernelILj1024ELj64ELb0EliEEvT3_PKT2_PKS1_PS2_PiS7_PS1_21rocsparse_index_base_20rocsparse_diag_type_.num_vgpr, 18
	.set _ZN9rocsparseL27csrsv_analysis_lower_kernelILj1024ELj64ELb0EliEEvT3_PKT2_PKS1_PS2_PiS7_PS1_21rocsparse_index_base_20rocsparse_diag_type_.num_agpr, 0
	.set _ZN9rocsparseL27csrsv_analysis_lower_kernelILj1024ELj64ELb0EliEEvT3_PKT2_PKS1_PS2_PiS7_PS1_21rocsparse_index_base_20rocsparse_diag_type_.numbered_sgpr, 29
	.set _ZN9rocsparseL27csrsv_analysis_lower_kernelILj1024ELj64ELb0EliEEvT3_PKT2_PKS1_PS2_PiS7_PS1_21rocsparse_index_base_20rocsparse_diag_type_.num_named_barrier, 0
	.set _ZN9rocsparseL27csrsv_analysis_lower_kernelILj1024ELj64ELb0EliEEvT3_PKT2_PKS1_PS2_PiS7_PS1_21rocsparse_index_base_20rocsparse_diag_type_.private_seg_size, 0
	.set _ZN9rocsparseL27csrsv_analysis_lower_kernelILj1024ELj64ELb0EliEEvT3_PKT2_PKS1_PS2_PiS7_PS1_21rocsparse_index_base_20rocsparse_diag_type_.uses_vcc, 1
	.set _ZN9rocsparseL27csrsv_analysis_lower_kernelILj1024ELj64ELb0EliEEvT3_PKT2_PKS1_PS2_PiS7_PS1_21rocsparse_index_base_20rocsparse_diag_type_.uses_flat_scratch, 0
	.set _ZN9rocsparseL27csrsv_analysis_lower_kernelILj1024ELj64ELb0EliEEvT3_PKT2_PKS1_PS2_PiS7_PS1_21rocsparse_index_base_20rocsparse_diag_type_.has_dyn_sized_stack, 0
	.set _ZN9rocsparseL27csrsv_analysis_lower_kernelILj1024ELj64ELb0EliEEvT3_PKT2_PKS1_PS2_PiS7_PS1_21rocsparse_index_base_20rocsparse_diag_type_.has_recursion, 0
	.set _ZN9rocsparseL27csrsv_analysis_lower_kernelILj1024ELj64ELb0EliEEvT3_PKT2_PKS1_PS2_PiS7_PS1_21rocsparse_index_base_20rocsparse_diag_type_.has_indirect_call, 0
	.section	.AMDGPU.csdata,"",@progbits
; Kernel info:
; codeLenInByte = 1048
; TotalNumSgprs: 33
; NumVgprs: 18
; ScratchSize: 0
; MemoryBound: 0
; FloatMode: 240
; IeeeMode: 1
; LDSByteSize: 64 bytes/workgroup (compile time only)
; SGPRBlocks: 4
; VGPRBlocks: 4
; NumSGPRsForWavesPerEU: 33
; NumVGPRsForWavesPerEU: 18
; Occupancy: 10
; WaveLimiterHint : 1
; COMPUTE_PGM_RSRC2:SCRATCH_EN: 0
; COMPUTE_PGM_RSRC2:USER_SGPR: 6
; COMPUTE_PGM_RSRC2:TRAP_HANDLER: 0
; COMPUTE_PGM_RSRC2:TGID_X_EN: 1
; COMPUTE_PGM_RSRC2:TGID_Y_EN: 0
; COMPUTE_PGM_RSRC2:TGID_Z_EN: 0
; COMPUTE_PGM_RSRC2:TIDIG_COMP_CNT: 0
	.section	.text._ZN9rocsparseL27csrsv_analysis_upper_kernelILj1024ELj64ELb1EllEEvT3_PKT2_PKS1_PS2_PiS7_PS1_21rocsparse_index_base_20rocsparse_diag_type_,"axG",@progbits,_ZN9rocsparseL27csrsv_analysis_upper_kernelILj1024ELj64ELb1EllEEvT3_PKT2_PKS1_PS2_PiS7_PS1_21rocsparse_index_base_20rocsparse_diag_type_,comdat
	.globl	_ZN9rocsparseL27csrsv_analysis_upper_kernelILj1024ELj64ELb1EllEEvT3_PKT2_PKS1_PS2_PiS7_PS1_21rocsparse_index_base_20rocsparse_diag_type_ ; -- Begin function _ZN9rocsparseL27csrsv_analysis_upper_kernelILj1024ELj64ELb1EllEEvT3_PKT2_PKS1_PS2_PiS7_PS1_21rocsparse_index_base_20rocsparse_diag_type_
	.p2align	8
	.type	_ZN9rocsparseL27csrsv_analysis_upper_kernelILj1024ELj64ELb1EllEEvT3_PKT2_PKS1_PS2_PiS7_PS1_21rocsparse_index_base_20rocsparse_diag_type_,@function
_ZN9rocsparseL27csrsv_analysis_upper_kernelILj1024ELj64ELb1EllEEvT3_PKT2_PKS1_PS2_PiS7_PS1_21rocsparse_index_base_20rocsparse_diag_type_: ; @_ZN9rocsparseL27csrsv_analysis_upper_kernelILj1024ELj64ELb1EllEEvT3_PKT2_PKS1_PS2_PiS7_PS1_21rocsparse_index_base_20rocsparse_diag_type_
; %bb.0:
	s_load_dwordx2 s[12:13], s[4:5], 0x0
	s_lshl_b32 s14, s6, 4
	s_mov_b32 s15, 0
	s_not_b64 s[0:1], s[14:15]
	v_lshrrev_b32_e32 v3, 6, v0
	s_waitcnt lgkmcnt(0)
	s_add_u32 s18, s12, s0
	s_addc_u32 s19, s13, s1
	v_mov_b32_e32 v2, s19
	v_sub_co_u32_e32 v1, vcc, s18, v3
	v_subbrev_co_u32_e32 v2, vcc, 0, v2, vcc
	v_cmp_lt_i64_e32 vcc, -1, v[1:2]
	v_mov_b32_e32 v4, 0
	v_lshlrev_b32_e32 v13, 2, v3
	ds_write_b32 v13, v4
	s_waitcnt lgkmcnt(0)
	s_barrier
	s_and_saveexec_b64 s[0:1], vcc
	s_cbranch_execz .LBB12_37
; %bb.1:
	s_load_dwordx2 s[0:1], s[4:5], 0x8
	s_load_dwordx4 s[8:11], s[4:5], 0x18
	v_and_b32_e32 v0, 63, v0
	v_lshlrev_b64 v[3:4], 3, v[1:2]
	v_cmp_eq_u32_e32 vcc, 0, v0
	s_and_saveexec_b64 s[2:3], vcc
	s_cbranch_execz .LBB12_3
; %bb.2:
	s_waitcnt lgkmcnt(0)
	v_mov_b32_e32 v6, s9
	v_add_co_u32_e32 v5, vcc, s8, v3
	v_mov_b32_e32 v7, -1
	v_addc_co_u32_e32 v6, vcc, v6, v4, vcc
	v_mov_b32_e32 v8, v7
	global_store_dwordx2 v[5:6], v[7:8], off
.LBB12_3:
	s_or_b64 exec, exec, s[2:3]
	s_waitcnt lgkmcnt(0)
	v_mov_b32_e32 v6, s1
	v_add_co_u32_e32 v5, vcc, s0, v3
	v_addc_co_u32_e32 v6, vcc, v6, v4, vcc
	global_load_dwordx4 v[5:8], v[5:6], off
	s_load_dwordx2 s[6:7], s[4:5], 0x38
	s_load_dwordx4 s[0:3], s[4:5], 0x28
	v_not_b32_e32 v9, v0
	v_ashrrev_i32_e32 v10, 31, v9
	v_mov_b32_e32 v18, 0
	s_waitcnt vmcnt(0) lgkmcnt(0)
	v_subrev_co_u32_e32 v5, vcc, s6, v5
	v_subbrev_co_u32_e32 v6, vcc, 0, v6, vcc
	v_subrev_co_u32_e32 v14, vcc, s6, v7
	v_subbrev_co_u32_e32 v15, vcc, 0, v8, vcc
	v_add_co_u32_e32 v11, vcc, v14, v9
	v_addc_co_u32_e32 v12, vcc, v15, v10, vcc
	v_cmp_ge_i64_e32 vcc, v[11:12], v[5:6]
	s_and_saveexec_b64 s[16:17], vcc
	s_cbranch_execz .LBB12_27
; %bb.4:
	s_load_dwordx2 s[4:5], s[4:5], 0x10
	v_mov_b32_e32 v18, 0
	s_mov_b64 s[20:21], 0
                                        ; implicit-def: $sgpr22_sgpr23
                                        ; implicit-def: $sgpr26_sgpr27
                                        ; implicit-def: $sgpr24_sgpr25
	s_waitcnt lgkmcnt(0)
	v_mov_b32_e32 v17, s5
	s_branch .LBB12_8
.LBB12_5:                               ;   in Loop: Header=BB12_8 Depth=1
	s_or_b64 exec, exec, s[34:35]
.LBB12_6:                               ;   in Loop: Header=BB12_8 Depth=1
	s_or_b64 exec, exec, s[30:31]
	v_add_co_u32_e32 v11, vcc, 0xffffffc0, v9
	v_addc_co_u32_e32 v12, vcc, -1, v10, vcc
	v_cmp_lt_i64_e32 vcc, v[11:12], v[5:6]
	s_andn2_b64 s[26:27], s[26:27], exec
	s_and_b64 s[30:31], vcc, exec
	v_max_i32_e32 v18, v18, v16
	s_andn2_b64 s[24:25], s[24:25], exec
	s_or_b64 s[26:27], s[26:27], s[30:31]
.LBB12_7:                               ;   in Loop: Header=BB12_8 Depth=1
	s_or_b64 exec, exec, s[28:29]
	s_and_b64 s[28:29], exec, s[26:27]
	s_or_b64 s[20:21], s[28:29], s[20:21]
	s_andn2_b64 s[22:23], s[22:23], exec
	s_and_b64 s[28:29], s[24:25], exec
	s_or_b64 s[22:23], s[22:23], s[28:29]
	s_andn2_b64 exec, exec, s[20:21]
	s_cbranch_execz .LBB12_14
.LBB12_8:                               ; =>This Loop Header: Depth=1
                                        ;     Child Loop BB12_12 Depth 2
                                        ;       Child Loop BB12_13 Depth 3
	v_mov_b32_e32 v9, v11
	v_mov_b32_e32 v10, v12
	v_lshlrev_b64 v[7:8], 3, v[9:10]
	v_mov_b32_e32 v16, v18
	v_add_co_u32_e32 v7, vcc, s4, v7
	v_addc_co_u32_e32 v8, vcc, v17, v8, vcc
	global_load_dwordx2 v[7:8], v[7:8], off glc slc
	s_or_b64 s[24:25], s[24:25], exec
	s_or_b64 s[26:27], s[26:27], exec
                                        ; implicit-def: $vgpr11_vgpr12
                                        ; implicit-def: $vgpr18
	s_waitcnt vmcnt(0)
	v_subrev_co_u32_e32 v7, vcc, s6, v7
	v_subbrev_co_u32_e32 v8, vcc, 0, v8, vcc
	v_cmp_lt_i64_e32 vcc, s[18:19], v[7:8]
	s_and_saveexec_b64 s[28:29], vcc
	s_cbranch_execz .LBB12_7
; %bb.9:                                ;   in Loop: Header=BB12_8 Depth=1
	v_lshlrev_b64 v[11:12], 2, v[7:8]
	v_mov_b32_e32 v18, s11
	v_add_co_u32_e32 v11, vcc, s10, v11
	v_addc_co_u32_e32 v12, vcc, v18, v12, vcc
	global_load_dword v18, v[11:12], off glc
	s_waitcnt vmcnt(0)
	v_cmp_eq_u32_e32 vcc, 0, v18
	s_and_saveexec_b64 s[30:31], vcc
	s_cbranch_execz .LBB12_6
; %bb.10:                               ;   in Loop: Header=BB12_8 Depth=1
	s_mov_b32 s5, 0
	s_mov_b64 s[34:35], 0
	s_branch .LBB12_12
.LBB12_11:                              ;   in Loop: Header=BB12_12 Depth=2
	global_load_dword v18, v[11:12], off glc
	s_cmpk_lt_u32 s5, 0xf43
	s_cselect_b64 s[36:37], -1, 0
	s_cmp_lg_u64 s[36:37], 0
	s_addc_u32 s5, s5, 0
	s_waitcnt vmcnt(0)
	v_cmp_ne_u32_e32 vcc, 0, v18
	s_or_b64 s[34:35], vcc, s[34:35]
	s_andn2_b64 exec, exec, s[34:35]
	s_cbranch_execz .LBB12_5
.LBB12_12:                              ;   Parent Loop BB12_8 Depth=1
                                        ; =>  This Loop Header: Depth=2
                                        ;       Child Loop BB12_13 Depth 3
	s_cmp_eq_u32 s5, 0
	s_mov_b32 s13, s5
	s_cbranch_scc1 .LBB12_11
.LBB12_13:                              ;   Parent Loop BB12_8 Depth=1
                                        ;     Parent Loop BB12_12 Depth=2
                                        ; =>    This Inner Loop Header: Depth=3
	s_add_i32 s13, s13, -1
	s_cmp_eq_u32 s13, 0
	s_sleep 1
	s_cbranch_scc0 .LBB12_13
	s_branch .LBB12_11
.LBB12_14:
	s_or_b64 exec, exec, s[20:21]
	s_and_saveexec_b64 s[4:5], s[22:23]
	s_xor_b64 s[4:5], exec, s[4:5]
	s_cbranch_execz .LBB12_26
; %bb.15:
	v_cmp_eq_u64_e32 vcc, v[7:8], v[1:2]
	s_and_saveexec_b64 s[18:19], vcc
	s_cbranch_execz .LBB12_17
; %bb.16:
	v_mov_b32_e32 v12, s9
	v_add_co_u32_e32 v11, vcc, s8, v3
	v_addc_co_u32_e32 v12, vcc, v12, v4, vcc
	global_store_dwordx2 v[11:12], v[9:10], off
.LBB12_17:
	s_or_b64 exec, exec, s[18:19]
	v_cmp_gt_i64_e32 vcc, v[7:8], v[1:2]
	s_and_saveexec_b64 s[18:19], vcc
	s_cbranch_execz .LBB12_25
; %bb.18:
	s_xor_b32 s13, s14, 0x3ffffff0
	s_add_i32 s12, s12, s13
	v_sub_u32_e32 v7, s12, v7
	v_lshlrev_b32_e32 v7, 2, v7
	ds_read_b32 v8, v7 offset:60
	s_mov_b32 s20, 0
	s_waitcnt lgkmcnt(0)
	v_cmp_eq_u32_e32 vcc, 0, v8
	s_and_saveexec_b64 s[12:13], vcc
	s_cbranch_execz .LBB12_24
; %bb.19:
	s_mov_b64 s[14:15], 0
	s_branch .LBB12_21
.LBB12_20:                              ;   in Loop: Header=BB12_21 Depth=1
	ds_read_b32 v8, v7 offset:60
	s_cmpk_lt_u32 s20, 0xf43
	s_cselect_b64 s[22:23], -1, 0
	s_cmp_lg_u64 s[22:23], 0
	s_addc_u32 s20, s20, 0
	s_waitcnt lgkmcnt(0)
	v_cmp_ne_u32_e32 vcc, 0, v8
	s_or_b64 s[14:15], vcc, s[14:15]
	s_andn2_b64 exec, exec, s[14:15]
	s_cbranch_execz .LBB12_23
.LBB12_21:                              ; =>This Loop Header: Depth=1
                                        ;     Child Loop BB12_22 Depth 2
	s_cmp_eq_u32 s20, 0
	s_mov_b32 s21, s20
	s_cbranch_scc1 .LBB12_20
.LBB12_22:                              ;   Parent Loop BB12_21 Depth=1
                                        ; =>  This Inner Loop Header: Depth=2
	s_add_i32 s21, s21, -1
	s_cmp_eq_u32 s21, 0
	s_sleep 1
	s_cbranch_scc0 .LBB12_22
	s_branch .LBB12_20
.LBB12_23:
	s_or_b64 exec, exec, s[14:15]
.LBB12_24:
	s_or_b64 exec, exec, s[12:13]
	v_max_i32_e32 v16, v8, v16
.LBB12_25:
	s_or_b64 exec, exec, s[18:19]
	v_mov_b32_e32 v18, v16
.LBB12_26:
	s_or_b64 exec, exec, s[4:5]
.LBB12_27:
	s_or_b64 exec, exec, s[16:17]
	v_mov_b32_dpp v7, v18 row_shr:1 row_mask:0xf bank_mask:0xf
	v_max_i32_e32 v7, v18, v7
	v_cmp_eq_u32_e32 vcc, 63, v0
	s_nop 0
	v_mov_b32_dpp v8, v7 row_shr:2 row_mask:0xf bank_mask:0xf
	v_max_i32_e32 v7, v7, v8
	s_nop 1
	v_mov_b32_dpp v8, v7 row_shr:4 row_mask:0xf bank_mask:0xe
	v_max_i32_e32 v7, v7, v8
	;; [unrolled: 3-line block ×3, first 2 shown]
	s_nop 1
	v_mov_b32_dpp v8, v7 row_bcast:15 row_mask:0xa bank_mask:0xf
	v_max_i32_e32 v7, v7, v8
	s_nop 1
	v_mov_b32_dpp v8, v7 row_bcast:31 row_mask:0xc bank_mask:0xf
	s_and_b64 exec, exec, vcc
	s_cbranch_execz .LBB12_37
; %bb.28:
	v_max_i32_e32 v0, v7, v8
	v_lshlrev_b64 v[7:8], 2, v[1:2]
	v_mov_b32_e32 v9, s11
	v_add_co_u32_e32 v7, vcc, s10, v7
	v_add_u32_e32 v0, 1, v0
	v_addc_co_u32_e32 v8, vcc, v9, v8, vcc
	ds_write_b32 v13, v0
	global_store_dword v[7:8], v0, off
	v_sub_co_u32_e32 v0, vcc, v14, v5
	s_mov_b64 s[4:5], exec
	v_subb_co_u32_e32 v5, vcc, v15, v6, vcc
	s_mov_b64 s[10:11], 0
.LBB12_29:                              ; =>This Inner Loop Header: Depth=1
	s_ff1_i32_b64 s14, s[4:5]
	v_readlane_b32 s15, v5, s14
	v_readlane_b32 s16, v0, s14
	v_mov_b32_e32 v6, s16
	v_mov_b32_e32 v7, s15
	v_cmp_gt_u64_e32 vcc, s[10:11], v[6:7]
	s_and_b64 s[12:13], vcc, exec
	s_cselect_b32 s11, s11, s15
	s_cselect_b32 s10, s10, s16
	s_lshl_b64 s[12:13], 1, s14
	s_andn2_b64 s[4:5], s[4:5], s[12:13]
	s_cmp_lg_u64 s[4:5], 0
	s_cbranch_scc1 .LBB12_29
; %bb.30:
	v_mbcnt_lo_u32_b32 v0, exec_lo, 0
	v_mbcnt_hi_u32_b32 v0, exec_hi, v0
	v_cmp_eq_u32_e32 vcc, 0, v0
	s_and_saveexec_b64 s[4:5], vcc
	s_xor_b64 s[4:5], exec, s[4:5]
	s_cbranch_execz .LBB12_32
; %bb.31:
	v_mov_b32_e32 v5, s10
	v_mov_b32_e32 v0, 0
	;; [unrolled: 1-line block ×3, first 2 shown]
	global_atomic_umax_x2 v0, v[5:6], s[0:1]
.LBB12_32:
	s_or_b64 exec, exec, s[4:5]
	v_mov_b32_e32 v0, s9
	v_add_co_u32_e32 v3, vcc, s8, v3
	v_addc_co_u32_e32 v4, vcc, v0, v4, vcc
	global_load_dwordx2 v[3:4], v[3:4], off
	s_cmp_eq_u32 s7, 0
	s_cselect_b64 s[4:5], -1, 0
	s_mov_b64 s[0:1], -1
	s_waitcnt vmcnt(0)
	v_cmp_eq_u64_e32 vcc, -1, v[3:4]
	s_and_b64 s[4:5], s[4:5], vcc
	s_and_b64 exec, exec, s[4:5]
	s_cbranch_execz .LBB12_37
; %bb.33:
	v_add_co_u32_e32 v0, vcc, s6, v1
	s_mov_b64 s[4:5], exec
	v_addc_co_u32_e32 v1, vcc, 0, v2, vcc
.LBB12_34:                              ; =>This Inner Loop Header: Depth=1
	s_ff1_i32_b64 s8, s[4:5]
	v_readlane_b32 s9, v1, s8
	v_readlane_b32 s10, v0, s8
	v_mov_b32_e32 v2, s10
	v_mov_b32_e32 v3, s9
	v_cmp_lt_u64_e32 vcc, s[0:1], v[2:3]
	s_and_b64 s[6:7], vcc, exec
	s_cselect_b32 s1, s1, s9
	s_cselect_b32 s0, s0, s10
	s_lshl_b64 s[6:7], 1, s8
	s_andn2_b64 s[4:5], s[4:5], s[6:7]
	s_cmp_lg_u64 s[4:5], 0
	s_cbranch_scc1 .LBB12_34
; %bb.35:
	v_mbcnt_lo_u32_b32 v0, exec_lo, 0
	v_mbcnt_hi_u32_b32 v0, exec_hi, v0
	v_cmp_eq_u32_e32 vcc, 0, v0
	s_and_saveexec_b64 s[4:5], vcc
	s_xor_b64 s[4:5], exec, s[4:5]
	s_cbranch_execz .LBB12_37
; %bb.36:
	v_mov_b32_e32 v0, s0
	v_mov_b32_e32 v2, 0
	;; [unrolled: 1-line block ×3, first 2 shown]
	global_atomic_umin_x2 v2, v[0:1], s[2:3]
.LBB12_37:
	s_endpgm
	.section	.rodata,"a",@progbits
	.p2align	6, 0x0
	.amdhsa_kernel _ZN9rocsparseL27csrsv_analysis_upper_kernelILj1024ELj64ELb1EllEEvT3_PKT2_PKS1_PS2_PiS7_PS1_21rocsparse_index_base_20rocsparse_diag_type_
		.amdhsa_group_segment_fixed_size 64
		.amdhsa_private_segment_fixed_size 0
		.amdhsa_kernarg_size 64
		.amdhsa_user_sgpr_count 6
		.amdhsa_user_sgpr_private_segment_buffer 1
		.amdhsa_user_sgpr_dispatch_ptr 0
		.amdhsa_user_sgpr_queue_ptr 0
		.amdhsa_user_sgpr_kernarg_segment_ptr 1
		.amdhsa_user_sgpr_dispatch_id 0
		.amdhsa_user_sgpr_flat_scratch_init 0
		.amdhsa_user_sgpr_private_segment_size 0
		.amdhsa_uses_dynamic_stack 0
		.amdhsa_system_sgpr_private_segment_wavefront_offset 0
		.amdhsa_system_sgpr_workgroup_id_x 1
		.amdhsa_system_sgpr_workgroup_id_y 0
		.amdhsa_system_sgpr_workgroup_id_z 0
		.amdhsa_system_sgpr_workgroup_info 0
		.amdhsa_system_vgpr_workitem_id 0
		.amdhsa_next_free_vgpr 19
		.amdhsa_next_free_sgpr 38
		.amdhsa_reserve_vcc 1
		.amdhsa_reserve_flat_scratch 0
		.amdhsa_float_round_mode_32 0
		.amdhsa_float_round_mode_16_64 0
		.amdhsa_float_denorm_mode_32 3
		.amdhsa_float_denorm_mode_16_64 3
		.amdhsa_dx10_clamp 1
		.amdhsa_ieee_mode 1
		.amdhsa_fp16_overflow 0
		.amdhsa_exception_fp_ieee_invalid_op 0
		.amdhsa_exception_fp_denorm_src 0
		.amdhsa_exception_fp_ieee_div_zero 0
		.amdhsa_exception_fp_ieee_overflow 0
		.amdhsa_exception_fp_ieee_underflow 0
		.amdhsa_exception_fp_ieee_inexact 0
		.amdhsa_exception_int_div_zero 0
	.end_amdhsa_kernel
	.section	.text._ZN9rocsparseL27csrsv_analysis_upper_kernelILj1024ELj64ELb1EllEEvT3_PKT2_PKS1_PS2_PiS7_PS1_21rocsparse_index_base_20rocsparse_diag_type_,"axG",@progbits,_ZN9rocsparseL27csrsv_analysis_upper_kernelILj1024ELj64ELb1EllEEvT3_PKT2_PKS1_PS2_PiS7_PS1_21rocsparse_index_base_20rocsparse_diag_type_,comdat
.Lfunc_end12:
	.size	_ZN9rocsparseL27csrsv_analysis_upper_kernelILj1024ELj64ELb1EllEEvT3_PKT2_PKS1_PS2_PiS7_PS1_21rocsparse_index_base_20rocsparse_diag_type_, .Lfunc_end12-_ZN9rocsparseL27csrsv_analysis_upper_kernelILj1024ELj64ELb1EllEEvT3_PKT2_PKS1_PS2_PiS7_PS1_21rocsparse_index_base_20rocsparse_diag_type_
                                        ; -- End function
	.set _ZN9rocsparseL27csrsv_analysis_upper_kernelILj1024ELj64ELb1EllEEvT3_PKT2_PKS1_PS2_PiS7_PS1_21rocsparse_index_base_20rocsparse_diag_type_.num_vgpr, 19
	.set _ZN9rocsparseL27csrsv_analysis_upper_kernelILj1024ELj64ELb1EllEEvT3_PKT2_PKS1_PS2_PiS7_PS1_21rocsparse_index_base_20rocsparse_diag_type_.num_agpr, 0
	.set _ZN9rocsparseL27csrsv_analysis_upper_kernelILj1024ELj64ELb1EllEEvT3_PKT2_PKS1_PS2_PiS7_PS1_21rocsparse_index_base_20rocsparse_diag_type_.numbered_sgpr, 38
	.set _ZN9rocsparseL27csrsv_analysis_upper_kernelILj1024ELj64ELb1EllEEvT3_PKT2_PKS1_PS2_PiS7_PS1_21rocsparse_index_base_20rocsparse_diag_type_.num_named_barrier, 0
	.set _ZN9rocsparseL27csrsv_analysis_upper_kernelILj1024ELj64ELb1EllEEvT3_PKT2_PKS1_PS2_PiS7_PS1_21rocsparse_index_base_20rocsparse_diag_type_.private_seg_size, 0
	.set _ZN9rocsparseL27csrsv_analysis_upper_kernelILj1024ELj64ELb1EllEEvT3_PKT2_PKS1_PS2_PiS7_PS1_21rocsparse_index_base_20rocsparse_diag_type_.uses_vcc, 1
	.set _ZN9rocsparseL27csrsv_analysis_upper_kernelILj1024ELj64ELb1EllEEvT3_PKT2_PKS1_PS2_PiS7_PS1_21rocsparse_index_base_20rocsparse_diag_type_.uses_flat_scratch, 0
	.set _ZN9rocsparseL27csrsv_analysis_upper_kernelILj1024ELj64ELb1EllEEvT3_PKT2_PKS1_PS2_PiS7_PS1_21rocsparse_index_base_20rocsparse_diag_type_.has_dyn_sized_stack, 0
	.set _ZN9rocsparseL27csrsv_analysis_upper_kernelILj1024ELj64ELb1EllEEvT3_PKT2_PKS1_PS2_PiS7_PS1_21rocsparse_index_base_20rocsparse_diag_type_.has_recursion, 0
	.set _ZN9rocsparseL27csrsv_analysis_upper_kernelILj1024ELj64ELb1EllEEvT3_PKT2_PKS1_PS2_PiS7_PS1_21rocsparse_index_base_20rocsparse_diag_type_.has_indirect_call, 0
	.section	.AMDGPU.csdata,"",@progbits
; Kernel info:
; codeLenInByte = 1236
; TotalNumSgprs: 42
; NumVgprs: 19
; ScratchSize: 0
; MemoryBound: 0
; FloatMode: 240
; IeeeMode: 1
; LDSByteSize: 64 bytes/workgroup (compile time only)
; SGPRBlocks: 5
; VGPRBlocks: 4
; NumSGPRsForWavesPerEU: 42
; NumVGPRsForWavesPerEU: 19
; Occupancy: 10
; WaveLimiterHint : 1
; COMPUTE_PGM_RSRC2:SCRATCH_EN: 0
; COMPUTE_PGM_RSRC2:USER_SGPR: 6
; COMPUTE_PGM_RSRC2:TRAP_HANDLER: 0
; COMPUTE_PGM_RSRC2:TGID_X_EN: 1
; COMPUTE_PGM_RSRC2:TGID_Y_EN: 0
; COMPUTE_PGM_RSRC2:TGID_Z_EN: 0
; COMPUTE_PGM_RSRC2:TIDIG_COMP_CNT: 0
	.section	.text._ZN9rocsparseL27csrsv_analysis_lower_kernelILj1024ELj64ELb1EllEEvT3_PKT2_PKS1_PS2_PiS7_PS1_21rocsparse_index_base_20rocsparse_diag_type_,"axG",@progbits,_ZN9rocsparseL27csrsv_analysis_lower_kernelILj1024ELj64ELb1EllEEvT3_PKT2_PKS1_PS2_PiS7_PS1_21rocsparse_index_base_20rocsparse_diag_type_,comdat
	.globl	_ZN9rocsparseL27csrsv_analysis_lower_kernelILj1024ELj64ELb1EllEEvT3_PKT2_PKS1_PS2_PiS7_PS1_21rocsparse_index_base_20rocsparse_diag_type_ ; -- Begin function _ZN9rocsparseL27csrsv_analysis_lower_kernelILj1024ELj64ELb1EllEEvT3_PKT2_PKS1_PS2_PiS7_PS1_21rocsparse_index_base_20rocsparse_diag_type_
	.p2align	8
	.type	_ZN9rocsparseL27csrsv_analysis_lower_kernelILj1024ELj64ELb1EllEEvT3_PKT2_PKS1_PS2_PiS7_PS1_21rocsparse_index_base_20rocsparse_diag_type_,@function
_ZN9rocsparseL27csrsv_analysis_lower_kernelILj1024ELj64ELb1EllEEvT3_PKT2_PKS1_PS2_PiS7_PS1_21rocsparse_index_base_20rocsparse_diag_type_: ; @_ZN9rocsparseL27csrsv_analysis_lower_kernelILj1024ELj64ELb1EllEEvT3_PKT2_PKS1_PS2_PiS7_PS1_21rocsparse_index_base_20rocsparse_diag_type_
; %bb.0:
	s_load_dwordx2 s[0:1], s[4:5], 0x0
	v_lshrrev_b32_e32 v3, 6, v0
	s_lshl_b32 s12, s6, 4
	v_or_b32_e32 v1, s12, v3
	v_mov_b32_e32 v2, 0
	s_waitcnt lgkmcnt(0)
	v_cmp_gt_i64_e32 vcc, s[0:1], v[1:2]
	v_lshlrev_b32_e32 v13, 2, v3
	ds_write_b32 v13, v2
	s_waitcnt lgkmcnt(0)
	s_barrier
	s_and_saveexec_b64 s[0:1], vcc
	s_cbranch_execz .LBB13_37
; %bb.1:
	s_load_dwordx2 s[0:1], s[4:5], 0x8
	s_load_dwordx4 s[8:11], s[4:5], 0x18
	v_and_b32_e32 v0, 63, v0
	v_lshlrev_b64 v[3:4], 3, v[1:2]
	v_cmp_eq_u32_e32 vcc, 0, v0
	s_and_saveexec_b64 s[2:3], vcc
	s_cbranch_execz .LBB13_3
; %bb.2:
	s_waitcnt lgkmcnt(0)
	v_mov_b32_e32 v6, s9
	v_add_co_u32_e32 v5, vcc, s8, v3
	v_mov_b32_e32 v7, -1
	v_addc_co_u32_e32 v6, vcc, v6, v4, vcc
	v_mov_b32_e32 v8, v7
	global_store_dwordx2 v[5:6], v[7:8], off
.LBB13_3:
	s_or_b64 exec, exec, s[2:3]
	s_waitcnt lgkmcnt(0)
	v_mov_b32_e32 v6, s1
	v_add_co_u32_e32 v5, vcc, s0, v3
	v_addc_co_u32_e32 v6, vcc, v6, v4, vcc
	global_load_dwordx4 v[5:8], v[5:6], off
	s_load_dwordx2 s[6:7], s[4:5], 0x38
	s_load_dwordx4 s[0:3], s[4:5], 0x28
	v_mov_b32_e32 v18, 0
	s_waitcnt vmcnt(0) lgkmcnt(0)
	v_subrev_co_u32_e32 v14, vcc, s6, v5
	v_subbrev_co_u32_e32 v15, vcc, 0, v6, vcc
	v_subrev_co_u32_e32 v5, vcc, s6, v7
	v_subbrev_co_u32_e32 v6, vcc, 0, v8, vcc
	v_add_co_u32_e32 v11, vcc, v14, v0
	v_addc_co_u32_e32 v12, vcc, 0, v15, vcc
	v_cmp_lt_i64_e32 vcc, v[11:12], v[5:6]
	s_and_saveexec_b64 s[14:15], vcc
	s_cbranch_execz .LBB13_27
; %bb.4:
	s_load_dwordx2 s[4:5], s[4:5], 0x10
	s_mov_b32 s13, 0
	v_mov_b32_e32 v18, 0
	s_mov_b64 s[16:17], 0
                                        ; implicit-def: $sgpr18_sgpr19
                                        ; implicit-def: $sgpr22_sgpr23
                                        ; implicit-def: $sgpr20_sgpr21
	s_waitcnt lgkmcnt(0)
	v_mov_b32_e32 v17, s5
	s_branch .LBB13_8
.LBB13_5:                               ;   in Loop: Header=BB13_8 Depth=1
	s_or_b64 exec, exec, s[28:29]
.LBB13_6:                               ;   in Loop: Header=BB13_8 Depth=1
	s_or_b64 exec, exec, s[26:27]
	v_add_co_u32_e32 v11, vcc, 64, v7
	v_addc_co_u32_e32 v12, vcc, 0, v8, vcc
	v_cmp_ge_i64_e32 vcc, v[11:12], v[5:6]
	s_andn2_b64 s[22:23], s[22:23], exec
	s_and_b64 s[26:27], vcc, exec
	v_max_i32_e32 v18, v18, v16
	s_andn2_b64 s[20:21], s[20:21], exec
	s_or_b64 s[22:23], s[22:23], s[26:27]
.LBB13_7:                               ;   in Loop: Header=BB13_8 Depth=1
	s_or_b64 exec, exec, s[24:25]
	s_and_b64 s[24:25], exec, s[22:23]
	s_or_b64 s[16:17], s[24:25], s[16:17]
	s_andn2_b64 s[18:19], s[18:19], exec
	s_and_b64 s[24:25], s[20:21], exec
	s_or_b64 s[18:19], s[18:19], s[24:25]
	s_andn2_b64 exec, exec, s[16:17]
	s_cbranch_execz .LBB13_14
.LBB13_8:                               ; =>This Loop Header: Depth=1
                                        ;     Child Loop BB13_12 Depth 2
                                        ;       Child Loop BB13_13 Depth 3
	v_mov_b32_e32 v7, v11
	v_mov_b32_e32 v8, v12
	v_lshlrev_b64 v[9:10], 3, v[7:8]
	v_mov_b32_e32 v16, v18
	v_add_co_u32_e32 v9, vcc, s4, v9
	v_addc_co_u32_e32 v10, vcc, v17, v10, vcc
	global_load_dwordx2 v[9:10], v[9:10], off glc slc
	s_or_b64 s[20:21], s[20:21], exec
	s_or_b64 s[22:23], s[22:23], exec
                                        ; implicit-def: $vgpr11_vgpr12
                                        ; implicit-def: $vgpr18
	s_waitcnt vmcnt(0)
	v_subrev_co_u32_e32 v9, vcc, s6, v9
	v_subbrev_co_u32_e32 v10, vcc, 0, v10, vcc
	v_cmp_gt_i64_e32 vcc, s[12:13], v[9:10]
	s_and_saveexec_b64 s[24:25], vcc
	s_cbranch_execz .LBB13_7
; %bb.9:                                ;   in Loop: Header=BB13_8 Depth=1
	v_lshlrev_b64 v[11:12], 2, v[9:10]
	v_mov_b32_e32 v18, s11
	v_add_co_u32_e32 v11, vcc, s10, v11
	v_addc_co_u32_e32 v12, vcc, v18, v12, vcc
	global_load_dword v18, v[11:12], off glc
	s_waitcnt vmcnt(0)
	v_cmp_eq_u32_e32 vcc, 0, v18
	s_and_saveexec_b64 s[26:27], vcc
	s_cbranch_execz .LBB13_6
; %bb.10:                               ;   in Loop: Header=BB13_8 Depth=1
	s_mov_b32 s5, 0
	s_mov_b64 s[28:29], 0
	s_branch .LBB13_12
.LBB13_11:                              ;   in Loop: Header=BB13_12 Depth=2
	global_load_dword v18, v[11:12], off glc
	s_cmpk_lt_u32 s5, 0xf43
	s_cselect_b64 s[30:31], -1, 0
	s_cmp_lg_u64 s[30:31], 0
	s_addc_u32 s5, s5, 0
	s_waitcnt vmcnt(0)
	v_cmp_ne_u32_e32 vcc, 0, v18
	s_or_b64 s[28:29], vcc, s[28:29]
	s_andn2_b64 exec, exec, s[28:29]
	s_cbranch_execz .LBB13_5
.LBB13_12:                              ;   Parent Loop BB13_8 Depth=1
                                        ; =>  This Loop Header: Depth=2
                                        ;       Child Loop BB13_13 Depth 3
	s_cmp_eq_u32 s5, 0
	s_mov_b32 s30, s5
	s_cbranch_scc1 .LBB13_11
.LBB13_13:                              ;   Parent Loop BB13_8 Depth=1
                                        ;     Parent Loop BB13_12 Depth=2
                                        ; =>    This Inner Loop Header: Depth=3
	s_add_i32 s30, s30, -1
	s_cmp_eq_u32 s30, 0
	s_sleep 1
	s_cbranch_scc0 .LBB13_13
	s_branch .LBB13_11
.LBB13_14:
	s_or_b64 exec, exec, s[16:17]
	s_and_saveexec_b64 s[4:5], s[18:19]
	s_xor_b64 s[4:5], exec, s[4:5]
	s_cbranch_execz .LBB13_26
; %bb.15:
	v_cmp_eq_u64_e32 vcc, v[9:10], v[1:2]
	s_and_saveexec_b64 s[16:17], vcc
	s_cbranch_execz .LBB13_17
; %bb.16:
	v_mov_b32_e32 v12, s9
	v_add_co_u32_e32 v11, vcc, s8, v3
	v_addc_co_u32_e32 v12, vcc, v12, v4, vcc
	global_store_dwordx2 v[11:12], v[7:8], off
.LBB13_17:
	s_or_b64 exec, exec, s[16:17]
	v_cmp_lt_i64_e32 vcc, v[9:10], v[1:2]
	s_and_saveexec_b64 s[16:17], vcc
	s_cbranch_execz .LBB13_25
; %bb.18:
	v_subrev_u32_e32 v7, s12, v9
	v_lshlrev_b32_e32 v7, 2, v7
	ds_read_b32 v8, v7
	s_mov_b32 s20, 0
	s_waitcnt lgkmcnt(0)
	v_cmp_eq_u32_e32 vcc, 0, v8
	s_and_saveexec_b64 s[12:13], vcc
	s_cbranch_execz .LBB13_24
; %bb.19:
	s_mov_b64 s[18:19], 0
	s_branch .LBB13_21
.LBB13_20:                              ;   in Loop: Header=BB13_21 Depth=1
	ds_read_b32 v8, v7
	s_cmpk_lt_u32 s20, 0xf43
	s_cselect_b64 s[22:23], -1, 0
	s_cmp_lg_u64 s[22:23], 0
	s_addc_u32 s20, s20, 0
	s_waitcnt lgkmcnt(0)
	v_cmp_ne_u32_e32 vcc, 0, v8
	s_or_b64 s[18:19], vcc, s[18:19]
	s_andn2_b64 exec, exec, s[18:19]
	s_cbranch_execz .LBB13_23
.LBB13_21:                              ; =>This Loop Header: Depth=1
                                        ;     Child Loop BB13_22 Depth 2
	s_cmp_eq_u32 s20, 0
	s_mov_b32 s21, s20
	s_cbranch_scc1 .LBB13_20
.LBB13_22:                              ;   Parent Loop BB13_21 Depth=1
                                        ; =>  This Inner Loop Header: Depth=2
	s_add_i32 s21, s21, -1
	s_cmp_eq_u32 s21, 0
	s_sleep 1
	s_cbranch_scc0 .LBB13_22
	s_branch .LBB13_20
.LBB13_23:
	s_or_b64 exec, exec, s[18:19]
.LBB13_24:
	s_or_b64 exec, exec, s[12:13]
	v_max_i32_e32 v16, v8, v16
.LBB13_25:
	s_or_b64 exec, exec, s[16:17]
	v_mov_b32_e32 v18, v16
.LBB13_26:
	s_or_b64 exec, exec, s[4:5]
.LBB13_27:
	s_or_b64 exec, exec, s[14:15]
	v_mov_b32_dpp v7, v18 row_shr:1 row_mask:0xf bank_mask:0xf
	v_max_i32_e32 v7, v18, v7
	v_cmp_eq_u32_e32 vcc, 63, v0
	s_nop 0
	v_mov_b32_dpp v8, v7 row_shr:2 row_mask:0xf bank_mask:0xf
	v_max_i32_e32 v7, v7, v8
	s_nop 1
	v_mov_b32_dpp v8, v7 row_shr:4 row_mask:0xf bank_mask:0xe
	v_max_i32_e32 v7, v7, v8
	;; [unrolled: 3-line block ×3, first 2 shown]
	s_nop 1
	v_mov_b32_dpp v8, v7 row_bcast:15 row_mask:0xa bank_mask:0xf
	v_max_i32_e32 v7, v7, v8
	s_nop 1
	v_mov_b32_dpp v8, v7 row_bcast:31 row_mask:0xc bank_mask:0xf
	s_and_b64 exec, exec, vcc
	s_cbranch_execz .LBB13_37
; %bb.28:
	v_max_i32_e32 v0, v7, v8
	v_lshlrev_b64 v[7:8], 2, v[1:2]
	v_mov_b32_e32 v2, s11
	v_add_co_u32_e32 v7, vcc, s10, v7
	v_add_u32_e32 v0, 1, v0
	v_addc_co_u32_e32 v8, vcc, v2, v8, vcc
	ds_write_b32 v13, v0
	global_store_dword v[7:8], v0, off
	v_sub_co_u32_e32 v0, vcc, v5, v14
	s_mov_b64 s[4:5], exec
	v_subb_co_u32_e32 v2, vcc, v6, v15, vcc
	s_mov_b64 s[10:11], 0
.LBB13_29:                              ; =>This Inner Loop Header: Depth=1
	s_ff1_i32_b64 s14, s[4:5]
	v_readlane_b32 s15, v2, s14
	v_readlane_b32 s16, v0, s14
	v_mov_b32_e32 v5, s16
	v_mov_b32_e32 v6, s15
	v_cmp_gt_u64_e32 vcc, s[10:11], v[5:6]
	s_and_b64 s[12:13], vcc, exec
	s_cselect_b32 s11, s11, s15
	s_cselect_b32 s10, s10, s16
	s_lshl_b64 s[12:13], 1, s14
	s_andn2_b64 s[4:5], s[4:5], s[12:13]
	s_cmp_lg_u64 s[4:5], 0
	s_cbranch_scc1 .LBB13_29
; %bb.30:
	v_mbcnt_lo_u32_b32 v0, exec_lo, 0
	v_mbcnt_hi_u32_b32 v0, exec_hi, v0
	v_cmp_eq_u32_e32 vcc, 0, v0
	s_and_saveexec_b64 s[4:5], vcc
	s_xor_b64 s[4:5], exec, s[4:5]
	s_cbranch_execz .LBB13_32
; %bb.31:
	v_mov_b32_e32 v5, s10
	v_mov_b32_e32 v0, 0
	;; [unrolled: 1-line block ×3, first 2 shown]
	global_atomic_umax_x2 v0, v[5:6], s[0:1]
.LBB13_32:
	s_or_b64 exec, exec, s[4:5]
	v_mov_b32_e32 v0, s9
	v_add_co_u32_e32 v2, vcc, s8, v3
	v_addc_co_u32_e32 v3, vcc, v0, v4, vcc
	global_load_dwordx2 v[2:3], v[2:3], off
	s_cmp_eq_u32 s7, 0
	s_cselect_b64 s[4:5], -1, 0
	s_mov_b64 s[0:1], -1
	s_waitcnt vmcnt(0)
	v_cmp_eq_u64_e32 vcc, -1, v[2:3]
	s_and_b64 s[4:5], s[4:5], vcc
	s_and_b64 exec, exec, s[4:5]
	s_cbranch_execz .LBB13_37
; %bb.33:
	v_add_co_u32_e32 v0, vcc, s6, v1
	s_mov_b64 s[4:5], exec
	v_addc_co_u32_e64 v1, s[6:7], 0, 0, vcc
.LBB13_34:                              ; =>This Inner Loop Header: Depth=1
	s_ff1_i32_b64 s8, s[4:5]
	v_readlane_b32 s9, v1, s8
	v_readlane_b32 s10, v0, s8
	v_mov_b32_e32 v2, s10
	v_mov_b32_e32 v3, s9
	v_cmp_lt_u64_e32 vcc, s[0:1], v[2:3]
	s_and_b64 s[6:7], vcc, exec
	s_cselect_b32 s1, s1, s9
	s_cselect_b32 s0, s0, s10
	s_lshl_b64 s[6:7], 1, s8
	s_andn2_b64 s[4:5], s[4:5], s[6:7]
	s_cmp_lg_u64 s[4:5], 0
	s_cbranch_scc1 .LBB13_34
; %bb.35:
	v_mbcnt_lo_u32_b32 v0, exec_lo, 0
	v_mbcnt_hi_u32_b32 v0, exec_hi, v0
	v_cmp_eq_u32_e32 vcc, 0, v0
	s_and_saveexec_b64 s[4:5], vcc
	s_xor_b64 s[4:5], exec, s[4:5]
	s_cbranch_execz .LBB13_37
; %bb.36:
	v_mov_b32_e32 v0, s0
	v_mov_b32_e32 v2, 0
	;; [unrolled: 1-line block ×3, first 2 shown]
	global_atomic_umin_x2 v2, v[0:1], s[2:3]
.LBB13_37:
	s_endpgm
	.section	.rodata,"a",@progbits
	.p2align	6, 0x0
	.amdhsa_kernel _ZN9rocsparseL27csrsv_analysis_lower_kernelILj1024ELj64ELb1EllEEvT3_PKT2_PKS1_PS2_PiS7_PS1_21rocsparse_index_base_20rocsparse_diag_type_
		.amdhsa_group_segment_fixed_size 64
		.amdhsa_private_segment_fixed_size 0
		.amdhsa_kernarg_size 64
		.amdhsa_user_sgpr_count 6
		.amdhsa_user_sgpr_private_segment_buffer 1
		.amdhsa_user_sgpr_dispatch_ptr 0
		.amdhsa_user_sgpr_queue_ptr 0
		.amdhsa_user_sgpr_kernarg_segment_ptr 1
		.amdhsa_user_sgpr_dispatch_id 0
		.amdhsa_user_sgpr_flat_scratch_init 0
		.amdhsa_user_sgpr_private_segment_size 0
		.amdhsa_uses_dynamic_stack 0
		.amdhsa_system_sgpr_private_segment_wavefront_offset 0
		.amdhsa_system_sgpr_workgroup_id_x 1
		.amdhsa_system_sgpr_workgroup_id_y 0
		.amdhsa_system_sgpr_workgroup_id_z 0
		.amdhsa_system_sgpr_workgroup_info 0
		.amdhsa_system_vgpr_workitem_id 0
		.amdhsa_next_free_vgpr 19
		.amdhsa_next_free_sgpr 32
		.amdhsa_reserve_vcc 1
		.amdhsa_reserve_flat_scratch 0
		.amdhsa_float_round_mode_32 0
		.amdhsa_float_round_mode_16_64 0
		.amdhsa_float_denorm_mode_32 3
		.amdhsa_float_denorm_mode_16_64 3
		.amdhsa_dx10_clamp 1
		.amdhsa_ieee_mode 1
		.amdhsa_fp16_overflow 0
		.amdhsa_exception_fp_ieee_invalid_op 0
		.amdhsa_exception_fp_denorm_src 0
		.amdhsa_exception_fp_ieee_div_zero 0
		.amdhsa_exception_fp_ieee_overflow 0
		.amdhsa_exception_fp_ieee_underflow 0
		.amdhsa_exception_fp_ieee_inexact 0
		.amdhsa_exception_int_div_zero 0
	.end_amdhsa_kernel
	.section	.text._ZN9rocsparseL27csrsv_analysis_lower_kernelILj1024ELj64ELb1EllEEvT3_PKT2_PKS1_PS2_PiS7_PS1_21rocsparse_index_base_20rocsparse_diag_type_,"axG",@progbits,_ZN9rocsparseL27csrsv_analysis_lower_kernelILj1024ELj64ELb1EllEEvT3_PKT2_PKS1_PS2_PiS7_PS1_21rocsparse_index_base_20rocsparse_diag_type_,comdat
.Lfunc_end13:
	.size	_ZN9rocsparseL27csrsv_analysis_lower_kernelILj1024ELj64ELb1EllEEvT3_PKT2_PKS1_PS2_PiS7_PS1_21rocsparse_index_base_20rocsparse_diag_type_, .Lfunc_end13-_ZN9rocsparseL27csrsv_analysis_lower_kernelILj1024ELj64ELb1EllEEvT3_PKT2_PKS1_PS2_PiS7_PS1_21rocsparse_index_base_20rocsparse_diag_type_
                                        ; -- End function
	.set _ZN9rocsparseL27csrsv_analysis_lower_kernelILj1024ELj64ELb1EllEEvT3_PKT2_PKS1_PS2_PiS7_PS1_21rocsparse_index_base_20rocsparse_diag_type_.num_vgpr, 19
	.set _ZN9rocsparseL27csrsv_analysis_lower_kernelILj1024ELj64ELb1EllEEvT3_PKT2_PKS1_PS2_PiS7_PS1_21rocsparse_index_base_20rocsparse_diag_type_.num_agpr, 0
	.set _ZN9rocsparseL27csrsv_analysis_lower_kernelILj1024ELj64ELb1EllEEvT3_PKT2_PKS1_PS2_PiS7_PS1_21rocsparse_index_base_20rocsparse_diag_type_.numbered_sgpr, 32
	.set _ZN9rocsparseL27csrsv_analysis_lower_kernelILj1024ELj64ELb1EllEEvT3_PKT2_PKS1_PS2_PiS7_PS1_21rocsparse_index_base_20rocsparse_diag_type_.num_named_barrier, 0
	.set _ZN9rocsparseL27csrsv_analysis_lower_kernelILj1024ELj64ELb1EllEEvT3_PKT2_PKS1_PS2_PiS7_PS1_21rocsparse_index_base_20rocsparse_diag_type_.private_seg_size, 0
	.set _ZN9rocsparseL27csrsv_analysis_lower_kernelILj1024ELj64ELb1EllEEvT3_PKT2_PKS1_PS2_PiS7_PS1_21rocsparse_index_base_20rocsparse_diag_type_.uses_vcc, 1
	.set _ZN9rocsparseL27csrsv_analysis_lower_kernelILj1024ELj64ELb1EllEEvT3_PKT2_PKS1_PS2_PiS7_PS1_21rocsparse_index_base_20rocsparse_diag_type_.uses_flat_scratch, 0
	.set _ZN9rocsparseL27csrsv_analysis_lower_kernelILj1024ELj64ELb1EllEEvT3_PKT2_PKS1_PS2_PiS7_PS1_21rocsparse_index_base_20rocsparse_diag_type_.has_dyn_sized_stack, 0
	.set _ZN9rocsparseL27csrsv_analysis_lower_kernelILj1024ELj64ELb1EllEEvT3_PKT2_PKS1_PS2_PiS7_PS1_21rocsparse_index_base_20rocsparse_diag_type_.has_recursion, 0
	.set _ZN9rocsparseL27csrsv_analysis_lower_kernelILj1024ELj64ELb1EllEEvT3_PKT2_PKS1_PS2_PiS7_PS1_21rocsparse_index_base_20rocsparse_diag_type_.has_indirect_call, 0
	.section	.AMDGPU.csdata,"",@progbits
; Kernel info:
; codeLenInByte = 1196
; TotalNumSgprs: 36
; NumVgprs: 19
; ScratchSize: 0
; MemoryBound: 0
; FloatMode: 240
; IeeeMode: 1
; LDSByteSize: 64 bytes/workgroup (compile time only)
; SGPRBlocks: 4
; VGPRBlocks: 4
; NumSGPRsForWavesPerEU: 36
; NumVGPRsForWavesPerEU: 19
; Occupancy: 10
; WaveLimiterHint : 1
; COMPUTE_PGM_RSRC2:SCRATCH_EN: 0
; COMPUTE_PGM_RSRC2:USER_SGPR: 6
; COMPUTE_PGM_RSRC2:TRAP_HANDLER: 0
; COMPUTE_PGM_RSRC2:TGID_X_EN: 1
; COMPUTE_PGM_RSRC2:TGID_Y_EN: 0
; COMPUTE_PGM_RSRC2:TGID_Z_EN: 0
; COMPUTE_PGM_RSRC2:TIDIG_COMP_CNT: 0
	.section	.text._ZN9rocsparseL27csrsv_analysis_upper_kernelILj1024ELj32ELb0EllEEvT3_PKT2_PKS1_PS2_PiS7_PS1_21rocsparse_index_base_20rocsparse_diag_type_,"axG",@progbits,_ZN9rocsparseL27csrsv_analysis_upper_kernelILj1024ELj32ELb0EllEEvT3_PKT2_PKS1_PS2_PiS7_PS1_21rocsparse_index_base_20rocsparse_diag_type_,comdat
	.globl	_ZN9rocsparseL27csrsv_analysis_upper_kernelILj1024ELj32ELb0EllEEvT3_PKT2_PKS1_PS2_PiS7_PS1_21rocsparse_index_base_20rocsparse_diag_type_ ; -- Begin function _ZN9rocsparseL27csrsv_analysis_upper_kernelILj1024ELj32ELb0EllEEvT3_PKT2_PKS1_PS2_PiS7_PS1_21rocsparse_index_base_20rocsparse_diag_type_
	.p2align	8
	.type	_ZN9rocsparseL27csrsv_analysis_upper_kernelILj1024ELj32ELb0EllEEvT3_PKT2_PKS1_PS2_PiS7_PS1_21rocsparse_index_base_20rocsparse_diag_type_,@function
_ZN9rocsparseL27csrsv_analysis_upper_kernelILj1024ELj32ELb0EllEEvT3_PKT2_PKS1_PS2_PiS7_PS1_21rocsparse_index_base_20rocsparse_diag_type_: ; @_ZN9rocsparseL27csrsv_analysis_upper_kernelILj1024ELj32ELb0EllEEvT3_PKT2_PKS1_PS2_PiS7_PS1_21rocsparse_index_base_20rocsparse_diag_type_
; %bb.0:
	s_load_dwordx2 s[12:13], s[4:5], 0x0
	s_lshl_b32 s14, s6, 5
	s_mov_b32 s15, 0
	s_not_b64 s[0:1], s[14:15]
	v_lshrrev_b32_e32 v3, 5, v0
	s_waitcnt lgkmcnt(0)
	s_add_u32 s16, s12, s0
	s_addc_u32 s17, s13, s1
	v_mov_b32_e32 v2, s17
	v_sub_co_u32_e32 v1, vcc, s16, v3
	v_subbrev_co_u32_e32 v2, vcc, 0, v2, vcc
	v_cmp_lt_i64_e32 vcc, -1, v[1:2]
	v_mov_b32_e32 v4, 0
	v_lshlrev_b32_e32 v13, 2, v3
	ds_write_b32 v13, v4
	s_waitcnt lgkmcnt(0)
	s_barrier
	s_and_saveexec_b64 s[0:1], vcc
	s_cbranch_execz .LBB14_33
; %bb.1:
	s_load_dwordx2 s[0:1], s[4:5], 0x8
	s_load_dwordx4 s[8:11], s[4:5], 0x18
	v_and_b32_e32 v0, 31, v0
	v_lshlrev_b64 v[3:4], 3, v[1:2]
	v_cmp_eq_u32_e32 vcc, 0, v0
	s_and_saveexec_b64 s[2:3], vcc
	s_cbranch_execz .LBB14_3
; %bb.2:
	s_waitcnt lgkmcnt(0)
	v_mov_b32_e32 v6, s9
	v_add_co_u32_e32 v5, vcc, s8, v3
	v_mov_b32_e32 v7, -1
	v_addc_co_u32_e32 v6, vcc, v6, v4, vcc
	v_mov_b32_e32 v8, v7
	global_store_dwordx2 v[5:6], v[7:8], off
.LBB14_3:
	s_or_b64 exec, exec, s[2:3]
	s_waitcnt lgkmcnt(0)
	v_mov_b32_e32 v6, s1
	v_add_co_u32_e32 v5, vcc, s0, v3
	v_addc_co_u32_e32 v6, vcc, v6, v4, vcc
	global_load_dwordx4 v[5:8], v[5:6], off
	s_load_dwordx2 s[6:7], s[4:5], 0x38
	s_load_dwordx4 s[0:3], s[4:5], 0x28
	v_not_b32_e32 v9, v0
	v_ashrrev_i32_e32 v10, 31, v9
	v_mov_b32_e32 v18, 0
	s_waitcnt vmcnt(0) lgkmcnt(0)
	v_subrev_co_u32_e32 v5, vcc, s6, v5
	v_subbrev_co_u32_e32 v6, vcc, 0, v6, vcc
	v_subrev_co_u32_e32 v14, vcc, s6, v7
	v_subbrev_co_u32_e32 v15, vcc, 0, v8, vcc
	v_add_co_u32_e32 v11, vcc, v14, v9
	v_addc_co_u32_e32 v12, vcc, v15, v10, vcc
	v_cmp_ge_i64_e32 vcc, v[11:12], v[5:6]
	s_and_saveexec_b64 s[18:19], vcc
	s_cbranch_execz .LBB14_23
; %bb.4:
	s_load_dwordx2 s[4:5], s[4:5], 0x10
	v_mov_b32_e32 v18, 0
	s_mov_b64 s[20:21], 0
                                        ; implicit-def: $sgpr22_sgpr23
                                        ; implicit-def: $sgpr26_sgpr27
                                        ; implicit-def: $sgpr24_sgpr25
	s_waitcnt lgkmcnt(0)
	v_mov_b32_e32 v17, s5
	s_branch .LBB14_7
.LBB14_5:                               ;   in Loop: Header=BB14_7 Depth=1
	s_or_b64 exec, exec, s[30:31]
	v_add_co_u32_e32 v11, vcc, 0xffffffe0, v9
	v_addc_co_u32_e32 v12, vcc, -1, v10, vcc
	v_cmp_lt_i64_e32 vcc, v[11:12], v[5:6]
	s_andn2_b64 s[26:27], s[26:27], exec
	s_and_b64 s[30:31], vcc, exec
	v_max_i32_e32 v18, v18, v16
	s_andn2_b64 s[24:25], s[24:25], exec
	s_or_b64 s[26:27], s[26:27], s[30:31]
.LBB14_6:                               ;   in Loop: Header=BB14_7 Depth=1
	s_or_b64 exec, exec, s[28:29]
	s_and_b64 s[28:29], exec, s[26:27]
	s_or_b64 s[20:21], s[28:29], s[20:21]
	s_andn2_b64 s[22:23], s[22:23], exec
	s_and_b64 s[28:29], s[24:25], exec
	s_or_b64 s[22:23], s[22:23], s[28:29]
	s_andn2_b64 exec, exec, s[20:21]
	s_cbranch_execz .LBB14_12
.LBB14_7:                               ; =>This Loop Header: Depth=1
                                        ;     Child Loop BB14_10 Depth 2
	v_mov_b32_e32 v9, v11
	v_mov_b32_e32 v10, v12
	v_lshlrev_b64 v[7:8], 3, v[9:10]
	v_mov_b32_e32 v16, v18
	v_add_co_u32_e32 v7, vcc, s4, v7
	v_addc_co_u32_e32 v8, vcc, v17, v8, vcc
	global_load_dwordx2 v[7:8], v[7:8], off glc slc
	s_or_b64 s[24:25], s[24:25], exec
	s_or_b64 s[26:27], s[26:27], exec
                                        ; implicit-def: $vgpr11_vgpr12
                                        ; implicit-def: $vgpr18
	s_waitcnt vmcnt(0)
	v_subrev_co_u32_e32 v7, vcc, s6, v7
	v_subbrev_co_u32_e32 v8, vcc, 0, v8, vcc
	v_cmp_lt_i64_e32 vcc, s[16:17], v[7:8]
	s_and_saveexec_b64 s[28:29], vcc
	s_cbranch_execz .LBB14_6
; %bb.8:                                ;   in Loop: Header=BB14_7 Depth=1
	v_lshlrev_b64 v[11:12], 2, v[7:8]
	v_mov_b32_e32 v18, s11
	v_add_co_u32_e32 v11, vcc, s10, v11
	v_addc_co_u32_e32 v12, vcc, v18, v12, vcc
	global_load_dword v18, v[11:12], off glc
	s_waitcnt vmcnt(0)
	v_cmp_eq_u32_e32 vcc, 0, v18
	s_and_saveexec_b64 s[30:31], vcc
	s_cbranch_execz .LBB14_5
; %bb.9:                                ;   in Loop: Header=BB14_7 Depth=1
	s_mov_b64 s[34:35], 0
.LBB14_10:                              ;   Parent Loop BB14_7 Depth=1
                                        ; =>  This Inner Loop Header: Depth=2
	global_load_dword v18, v[11:12], off glc
	s_waitcnt vmcnt(0)
	v_cmp_ne_u32_e32 vcc, 0, v18
	s_or_b64 s[34:35], vcc, s[34:35]
	s_andn2_b64 exec, exec, s[34:35]
	s_cbranch_execnz .LBB14_10
; %bb.11:                               ;   in Loop: Header=BB14_7 Depth=1
	s_or_b64 exec, exec, s[34:35]
	s_branch .LBB14_5
.LBB14_12:
	s_or_b64 exec, exec, s[20:21]
	s_and_saveexec_b64 s[4:5], s[22:23]
	s_xor_b64 s[4:5], exec, s[4:5]
	s_cbranch_execz .LBB14_22
; %bb.13:
	v_cmp_eq_u64_e32 vcc, v[7:8], v[1:2]
	s_and_saveexec_b64 s[16:17], vcc
	s_cbranch_execz .LBB14_15
; %bb.14:
	v_mov_b32_e32 v12, s9
	v_add_co_u32_e32 v11, vcc, s8, v3
	v_addc_co_u32_e32 v12, vcc, v12, v4, vcc
	global_store_dwordx2 v[11:12], v[9:10], off
.LBB14_15:
	s_or_b64 exec, exec, s[16:17]
	v_cmp_gt_i64_e32 vcc, v[7:8], v[1:2]
	s_and_saveexec_b64 s[16:17], vcc
	s_cbranch_execz .LBB14_21
; %bb.16:
	s_xor_b32 s13, s14, 0x3fffffe0
	s_add_i32 s12, s12, s13
	v_sub_u32_e32 v7, s12, v7
	v_lshlrev_b32_e32 v8, 2, v7
	ds_read_b32 v7, v8 offset:124
	s_waitcnt lgkmcnt(0)
	v_cmp_eq_u32_e32 vcc, 0, v7
	s_and_saveexec_b64 s[12:13], vcc
	s_cbranch_execz .LBB14_20
; %bb.17:
	s_mov_b64 s[14:15], 0
.LBB14_18:                              ; =>This Inner Loop Header: Depth=1
	ds_read_b32 v7, v8 offset:124
	s_waitcnt lgkmcnt(0)
	v_cmp_ne_u32_e32 vcc, 0, v7
	s_or_b64 s[14:15], vcc, s[14:15]
	s_andn2_b64 exec, exec, s[14:15]
	s_cbranch_execnz .LBB14_18
; %bb.19:
	s_or_b64 exec, exec, s[14:15]
.LBB14_20:
	s_or_b64 exec, exec, s[12:13]
	v_max_i32_e32 v16, v7, v16
.LBB14_21:
	s_or_b64 exec, exec, s[16:17]
	v_mov_b32_e32 v18, v16
.LBB14_22:
	s_or_b64 exec, exec, s[4:5]
.LBB14_23:
	s_or_b64 exec, exec, s[18:19]
	v_mov_b32_dpp v7, v18 row_shr:1 row_mask:0xf bank_mask:0xf
	v_max_i32_e32 v7, v18, v7
	v_cmp_eq_u32_e32 vcc, 31, v0
	s_nop 0
	v_mov_b32_dpp v8, v7 row_shr:2 row_mask:0xf bank_mask:0xf
	v_max_i32_e32 v7, v7, v8
	s_nop 1
	v_mov_b32_dpp v8, v7 row_shr:4 row_mask:0xf bank_mask:0xe
	v_max_i32_e32 v7, v7, v8
	;; [unrolled: 3-line block ×3, first 2 shown]
	s_nop 1
	v_mov_b32_dpp v8, v7 row_bcast:15 row_mask:0xa bank_mask:0xf
	s_and_b64 exec, exec, vcc
	s_cbranch_execz .LBB14_33
; %bb.24:
	v_max_i32_e32 v0, v7, v8
	v_lshlrev_b64 v[7:8], 2, v[1:2]
	v_mov_b32_e32 v9, s11
	v_add_co_u32_e32 v7, vcc, s10, v7
	v_add_u32_e32 v0, 1, v0
	v_addc_co_u32_e32 v8, vcc, v9, v8, vcc
	ds_write_b32 v13, v0
	global_store_dword v[7:8], v0, off
	v_sub_co_u32_e32 v0, vcc, v14, v5
	s_mov_b64 s[4:5], exec
	v_subb_co_u32_e32 v5, vcc, v15, v6, vcc
	s_mov_b64 s[10:11], 0
.LBB14_25:                              ; =>This Inner Loop Header: Depth=1
	s_ff1_i32_b64 s14, s[4:5]
	v_readlane_b32 s15, v5, s14
	v_readlane_b32 s16, v0, s14
	v_mov_b32_e32 v6, s16
	v_mov_b32_e32 v7, s15
	v_cmp_gt_u64_e32 vcc, s[10:11], v[6:7]
	s_and_b64 s[12:13], vcc, exec
	s_cselect_b32 s11, s11, s15
	s_cselect_b32 s10, s10, s16
	s_lshl_b64 s[12:13], 1, s14
	s_andn2_b64 s[4:5], s[4:5], s[12:13]
	s_cmp_lg_u64 s[4:5], 0
	s_cbranch_scc1 .LBB14_25
; %bb.26:
	v_mbcnt_lo_u32_b32 v0, exec_lo, 0
	v_mbcnt_hi_u32_b32 v0, exec_hi, v0
	v_cmp_eq_u32_e32 vcc, 0, v0
	s_and_saveexec_b64 s[4:5], vcc
	s_xor_b64 s[4:5], exec, s[4:5]
	s_cbranch_execz .LBB14_28
; %bb.27:
	v_mov_b32_e32 v5, s10
	v_mov_b32_e32 v0, 0
	;; [unrolled: 1-line block ×3, first 2 shown]
	global_atomic_umax_x2 v0, v[5:6], s[0:1]
.LBB14_28:
	s_or_b64 exec, exec, s[4:5]
	v_mov_b32_e32 v0, s9
	v_add_co_u32_e32 v3, vcc, s8, v3
	v_addc_co_u32_e32 v4, vcc, v0, v4, vcc
	global_load_dwordx2 v[3:4], v[3:4], off
	s_cmp_eq_u32 s7, 0
	s_cselect_b64 s[4:5], -1, 0
	s_mov_b64 s[0:1], -1
	s_waitcnt vmcnt(0)
	v_cmp_eq_u64_e32 vcc, -1, v[3:4]
	s_and_b64 s[4:5], s[4:5], vcc
	s_and_b64 exec, exec, s[4:5]
	s_cbranch_execz .LBB14_33
; %bb.29:
	v_add_co_u32_e32 v0, vcc, s6, v1
	s_mov_b64 s[4:5], exec
	v_addc_co_u32_e32 v1, vcc, 0, v2, vcc
.LBB14_30:                              ; =>This Inner Loop Header: Depth=1
	s_ff1_i32_b64 s8, s[4:5]
	v_readlane_b32 s9, v1, s8
	v_readlane_b32 s10, v0, s8
	v_mov_b32_e32 v2, s10
	v_mov_b32_e32 v3, s9
	v_cmp_lt_u64_e32 vcc, s[0:1], v[2:3]
	s_and_b64 s[6:7], vcc, exec
	s_cselect_b32 s1, s1, s9
	s_cselect_b32 s0, s0, s10
	s_lshl_b64 s[6:7], 1, s8
	s_andn2_b64 s[4:5], s[4:5], s[6:7]
	s_cmp_lg_u64 s[4:5], 0
	s_cbranch_scc1 .LBB14_30
; %bb.31:
	v_mbcnt_lo_u32_b32 v0, exec_lo, 0
	v_mbcnt_hi_u32_b32 v0, exec_hi, v0
	v_cmp_eq_u32_e32 vcc, 0, v0
	s_and_saveexec_b64 s[4:5], vcc
	s_xor_b64 s[4:5], exec, s[4:5]
	s_cbranch_execz .LBB14_33
; %bb.32:
	v_mov_b32_e32 v0, s0
	v_mov_b32_e32 v2, 0
	;; [unrolled: 1-line block ×3, first 2 shown]
	global_atomic_umin_x2 v2, v[0:1], s[2:3]
.LBB14_33:
	s_endpgm
	.section	.rodata,"a",@progbits
	.p2align	6, 0x0
	.amdhsa_kernel _ZN9rocsparseL27csrsv_analysis_upper_kernelILj1024ELj32ELb0EllEEvT3_PKT2_PKS1_PS2_PiS7_PS1_21rocsparse_index_base_20rocsparse_diag_type_
		.amdhsa_group_segment_fixed_size 128
		.amdhsa_private_segment_fixed_size 0
		.amdhsa_kernarg_size 64
		.amdhsa_user_sgpr_count 6
		.amdhsa_user_sgpr_private_segment_buffer 1
		.amdhsa_user_sgpr_dispatch_ptr 0
		.amdhsa_user_sgpr_queue_ptr 0
		.amdhsa_user_sgpr_kernarg_segment_ptr 1
		.amdhsa_user_sgpr_dispatch_id 0
		.amdhsa_user_sgpr_flat_scratch_init 0
		.amdhsa_user_sgpr_private_segment_size 0
		.amdhsa_uses_dynamic_stack 0
		.amdhsa_system_sgpr_private_segment_wavefront_offset 0
		.amdhsa_system_sgpr_workgroup_id_x 1
		.amdhsa_system_sgpr_workgroup_id_y 0
		.amdhsa_system_sgpr_workgroup_id_z 0
		.amdhsa_system_sgpr_workgroup_info 0
		.amdhsa_system_vgpr_workitem_id 0
		.amdhsa_next_free_vgpr 19
		.amdhsa_next_free_sgpr 36
		.amdhsa_reserve_vcc 1
		.amdhsa_reserve_flat_scratch 0
		.amdhsa_float_round_mode_32 0
		.amdhsa_float_round_mode_16_64 0
		.amdhsa_float_denorm_mode_32 3
		.amdhsa_float_denorm_mode_16_64 3
		.amdhsa_dx10_clamp 1
		.amdhsa_ieee_mode 1
		.amdhsa_fp16_overflow 0
		.amdhsa_exception_fp_ieee_invalid_op 0
		.amdhsa_exception_fp_denorm_src 0
		.amdhsa_exception_fp_ieee_div_zero 0
		.amdhsa_exception_fp_ieee_overflow 0
		.amdhsa_exception_fp_ieee_underflow 0
		.amdhsa_exception_fp_ieee_inexact 0
		.amdhsa_exception_int_div_zero 0
	.end_amdhsa_kernel
	.section	.text._ZN9rocsparseL27csrsv_analysis_upper_kernelILj1024ELj32ELb0EllEEvT3_PKT2_PKS1_PS2_PiS7_PS1_21rocsparse_index_base_20rocsparse_diag_type_,"axG",@progbits,_ZN9rocsparseL27csrsv_analysis_upper_kernelILj1024ELj32ELb0EllEEvT3_PKT2_PKS1_PS2_PiS7_PS1_21rocsparse_index_base_20rocsparse_diag_type_,comdat
.Lfunc_end14:
	.size	_ZN9rocsparseL27csrsv_analysis_upper_kernelILj1024ELj32ELb0EllEEvT3_PKT2_PKS1_PS2_PiS7_PS1_21rocsparse_index_base_20rocsparse_diag_type_, .Lfunc_end14-_ZN9rocsparseL27csrsv_analysis_upper_kernelILj1024ELj32ELb0EllEEvT3_PKT2_PKS1_PS2_PiS7_PS1_21rocsparse_index_base_20rocsparse_diag_type_
                                        ; -- End function
	.set _ZN9rocsparseL27csrsv_analysis_upper_kernelILj1024ELj32ELb0EllEEvT3_PKT2_PKS1_PS2_PiS7_PS1_21rocsparse_index_base_20rocsparse_diag_type_.num_vgpr, 19
	.set _ZN9rocsparseL27csrsv_analysis_upper_kernelILj1024ELj32ELb0EllEEvT3_PKT2_PKS1_PS2_PiS7_PS1_21rocsparse_index_base_20rocsparse_diag_type_.num_agpr, 0
	.set _ZN9rocsparseL27csrsv_analysis_upper_kernelILj1024ELj32ELb0EllEEvT3_PKT2_PKS1_PS2_PiS7_PS1_21rocsparse_index_base_20rocsparse_diag_type_.numbered_sgpr, 36
	.set _ZN9rocsparseL27csrsv_analysis_upper_kernelILj1024ELj32ELb0EllEEvT3_PKT2_PKS1_PS2_PiS7_PS1_21rocsparse_index_base_20rocsparse_diag_type_.num_named_barrier, 0
	.set _ZN9rocsparseL27csrsv_analysis_upper_kernelILj1024ELj32ELb0EllEEvT3_PKT2_PKS1_PS2_PiS7_PS1_21rocsparse_index_base_20rocsparse_diag_type_.private_seg_size, 0
	.set _ZN9rocsparseL27csrsv_analysis_upper_kernelILj1024ELj32ELb0EllEEvT3_PKT2_PKS1_PS2_PiS7_PS1_21rocsparse_index_base_20rocsparse_diag_type_.uses_vcc, 1
	.set _ZN9rocsparseL27csrsv_analysis_upper_kernelILj1024ELj32ELb0EllEEvT3_PKT2_PKS1_PS2_PiS7_PS1_21rocsparse_index_base_20rocsparse_diag_type_.uses_flat_scratch, 0
	.set _ZN9rocsparseL27csrsv_analysis_upper_kernelILj1024ELj32ELb0EllEEvT3_PKT2_PKS1_PS2_PiS7_PS1_21rocsparse_index_base_20rocsparse_diag_type_.has_dyn_sized_stack, 0
	.set _ZN9rocsparseL27csrsv_analysis_upper_kernelILj1024ELj32ELb0EllEEvT3_PKT2_PKS1_PS2_PiS7_PS1_21rocsparse_index_base_20rocsparse_diag_type_.has_recursion, 0
	.set _ZN9rocsparseL27csrsv_analysis_upper_kernelILj1024ELj32ELb0EllEEvT3_PKT2_PKS1_PS2_PiS7_PS1_21rocsparse_index_base_20rocsparse_diag_type_.has_indirect_call, 0
	.section	.AMDGPU.csdata,"",@progbits
; Kernel info:
; codeLenInByte = 1112
; TotalNumSgprs: 40
; NumVgprs: 19
; ScratchSize: 0
; MemoryBound: 0
; FloatMode: 240
; IeeeMode: 1
; LDSByteSize: 128 bytes/workgroup (compile time only)
; SGPRBlocks: 4
; VGPRBlocks: 4
; NumSGPRsForWavesPerEU: 40
; NumVGPRsForWavesPerEU: 19
; Occupancy: 10
; WaveLimiterHint : 1
; COMPUTE_PGM_RSRC2:SCRATCH_EN: 0
; COMPUTE_PGM_RSRC2:USER_SGPR: 6
; COMPUTE_PGM_RSRC2:TRAP_HANDLER: 0
; COMPUTE_PGM_RSRC2:TGID_X_EN: 1
; COMPUTE_PGM_RSRC2:TGID_Y_EN: 0
; COMPUTE_PGM_RSRC2:TGID_Z_EN: 0
; COMPUTE_PGM_RSRC2:TIDIG_COMP_CNT: 0
	.section	.text._ZN9rocsparseL27csrsv_analysis_lower_kernelILj1024ELj32ELb0EllEEvT3_PKT2_PKS1_PS2_PiS7_PS1_21rocsparse_index_base_20rocsparse_diag_type_,"axG",@progbits,_ZN9rocsparseL27csrsv_analysis_lower_kernelILj1024ELj32ELb0EllEEvT3_PKT2_PKS1_PS2_PiS7_PS1_21rocsparse_index_base_20rocsparse_diag_type_,comdat
	.globl	_ZN9rocsparseL27csrsv_analysis_lower_kernelILj1024ELj32ELb0EllEEvT3_PKT2_PKS1_PS2_PiS7_PS1_21rocsparse_index_base_20rocsparse_diag_type_ ; -- Begin function _ZN9rocsparseL27csrsv_analysis_lower_kernelILj1024ELj32ELb0EllEEvT3_PKT2_PKS1_PS2_PiS7_PS1_21rocsparse_index_base_20rocsparse_diag_type_
	.p2align	8
	.type	_ZN9rocsparseL27csrsv_analysis_lower_kernelILj1024ELj32ELb0EllEEvT3_PKT2_PKS1_PS2_PiS7_PS1_21rocsparse_index_base_20rocsparse_diag_type_,@function
_ZN9rocsparseL27csrsv_analysis_lower_kernelILj1024ELj32ELb0EllEEvT3_PKT2_PKS1_PS2_PiS7_PS1_21rocsparse_index_base_20rocsparse_diag_type_: ; @_ZN9rocsparseL27csrsv_analysis_lower_kernelILj1024ELj32ELb0EllEEvT3_PKT2_PKS1_PS2_PiS7_PS1_21rocsparse_index_base_20rocsparse_diag_type_
; %bb.0:
	s_load_dwordx2 s[0:1], s[4:5], 0x0
	v_lshrrev_b32_e32 v3, 5, v0
	s_lshl_b32 s12, s6, 5
	v_or_b32_e32 v1, s12, v3
	v_mov_b32_e32 v2, 0
	s_waitcnt lgkmcnt(0)
	v_cmp_gt_i64_e32 vcc, s[0:1], v[1:2]
	v_lshlrev_b32_e32 v13, 2, v3
	ds_write_b32 v13, v2
	s_waitcnt lgkmcnt(0)
	s_barrier
	s_and_saveexec_b64 s[0:1], vcc
	s_cbranch_execz .LBB15_33
; %bb.1:
	s_load_dwordx2 s[0:1], s[4:5], 0x8
	s_load_dwordx4 s[8:11], s[4:5], 0x18
	v_and_b32_e32 v0, 31, v0
	v_lshlrev_b64 v[3:4], 3, v[1:2]
	v_cmp_eq_u32_e32 vcc, 0, v0
	s_and_saveexec_b64 s[2:3], vcc
	s_cbranch_execz .LBB15_3
; %bb.2:
	s_waitcnt lgkmcnt(0)
	v_mov_b32_e32 v6, s9
	v_add_co_u32_e32 v5, vcc, s8, v3
	v_mov_b32_e32 v7, -1
	v_addc_co_u32_e32 v6, vcc, v6, v4, vcc
	v_mov_b32_e32 v8, v7
	global_store_dwordx2 v[5:6], v[7:8], off
.LBB15_3:
	s_or_b64 exec, exec, s[2:3]
	s_waitcnt lgkmcnt(0)
	v_mov_b32_e32 v6, s1
	v_add_co_u32_e32 v5, vcc, s0, v3
	v_addc_co_u32_e32 v6, vcc, v6, v4, vcc
	global_load_dwordx4 v[5:8], v[5:6], off
	s_load_dwordx2 s[6:7], s[4:5], 0x38
	s_load_dwordx4 s[0:3], s[4:5], 0x28
	v_mov_b32_e32 v18, 0
	s_waitcnt vmcnt(0) lgkmcnt(0)
	v_subrev_co_u32_e32 v14, vcc, s6, v5
	v_subbrev_co_u32_e32 v15, vcc, 0, v6, vcc
	v_subrev_co_u32_e32 v5, vcc, s6, v7
	v_subbrev_co_u32_e32 v6, vcc, 0, v8, vcc
	v_add_co_u32_e32 v11, vcc, v14, v0
	v_addc_co_u32_e32 v12, vcc, 0, v15, vcc
	v_cmp_lt_i64_e32 vcc, v[11:12], v[5:6]
	s_and_saveexec_b64 s[14:15], vcc
	s_cbranch_execz .LBB15_23
; %bb.4:
	s_load_dwordx2 s[4:5], s[4:5], 0x10
	s_mov_b32 s13, 0
	v_mov_b32_e32 v18, 0
	s_mov_b64 s[16:17], 0
                                        ; implicit-def: $sgpr18_sgpr19
                                        ; implicit-def: $sgpr22_sgpr23
                                        ; implicit-def: $sgpr20_sgpr21
	s_waitcnt lgkmcnt(0)
	v_mov_b32_e32 v17, s5
	s_branch .LBB15_7
.LBB15_5:                               ;   in Loop: Header=BB15_7 Depth=1
	s_or_b64 exec, exec, s[26:27]
	v_add_co_u32_e32 v11, vcc, 32, v7
	v_addc_co_u32_e32 v12, vcc, 0, v8, vcc
	v_cmp_ge_i64_e32 vcc, v[11:12], v[5:6]
	s_andn2_b64 s[22:23], s[22:23], exec
	s_and_b64 s[26:27], vcc, exec
	v_max_i32_e32 v18, v18, v16
	s_andn2_b64 s[20:21], s[20:21], exec
	s_or_b64 s[22:23], s[22:23], s[26:27]
.LBB15_6:                               ;   in Loop: Header=BB15_7 Depth=1
	s_or_b64 exec, exec, s[24:25]
	s_and_b64 s[24:25], exec, s[22:23]
	s_or_b64 s[16:17], s[24:25], s[16:17]
	s_andn2_b64 s[18:19], s[18:19], exec
	s_and_b64 s[24:25], s[20:21], exec
	s_or_b64 s[18:19], s[18:19], s[24:25]
	s_andn2_b64 exec, exec, s[16:17]
	s_cbranch_execz .LBB15_12
.LBB15_7:                               ; =>This Loop Header: Depth=1
                                        ;     Child Loop BB15_10 Depth 2
	v_mov_b32_e32 v7, v11
	v_mov_b32_e32 v8, v12
	v_lshlrev_b64 v[9:10], 3, v[7:8]
	v_mov_b32_e32 v16, v18
	v_add_co_u32_e32 v9, vcc, s4, v9
	v_addc_co_u32_e32 v10, vcc, v17, v10, vcc
	global_load_dwordx2 v[9:10], v[9:10], off glc slc
	s_or_b64 s[20:21], s[20:21], exec
	s_or_b64 s[22:23], s[22:23], exec
                                        ; implicit-def: $vgpr11_vgpr12
                                        ; implicit-def: $vgpr18
	s_waitcnt vmcnt(0)
	v_subrev_co_u32_e32 v9, vcc, s6, v9
	v_subbrev_co_u32_e32 v10, vcc, 0, v10, vcc
	v_cmp_gt_i64_e32 vcc, s[12:13], v[9:10]
	s_and_saveexec_b64 s[24:25], vcc
	s_cbranch_execz .LBB15_6
; %bb.8:                                ;   in Loop: Header=BB15_7 Depth=1
	v_lshlrev_b64 v[11:12], 2, v[9:10]
	v_mov_b32_e32 v18, s11
	v_add_co_u32_e32 v11, vcc, s10, v11
	v_addc_co_u32_e32 v12, vcc, v18, v12, vcc
	global_load_dword v18, v[11:12], off glc
	s_waitcnt vmcnt(0)
	v_cmp_eq_u32_e32 vcc, 0, v18
	s_and_saveexec_b64 s[26:27], vcc
	s_cbranch_execz .LBB15_5
; %bb.9:                                ;   in Loop: Header=BB15_7 Depth=1
	s_mov_b64 s[28:29], 0
.LBB15_10:                              ;   Parent Loop BB15_7 Depth=1
                                        ; =>  This Inner Loop Header: Depth=2
	global_load_dword v18, v[11:12], off glc
	s_waitcnt vmcnt(0)
	v_cmp_ne_u32_e32 vcc, 0, v18
	s_or_b64 s[28:29], vcc, s[28:29]
	s_andn2_b64 exec, exec, s[28:29]
	s_cbranch_execnz .LBB15_10
; %bb.11:                               ;   in Loop: Header=BB15_7 Depth=1
	s_or_b64 exec, exec, s[28:29]
	s_branch .LBB15_5
.LBB15_12:
	s_or_b64 exec, exec, s[16:17]
	s_and_saveexec_b64 s[4:5], s[18:19]
	s_xor_b64 s[4:5], exec, s[4:5]
	s_cbranch_execz .LBB15_22
; %bb.13:
	v_cmp_eq_u64_e32 vcc, v[9:10], v[1:2]
	s_and_saveexec_b64 s[16:17], vcc
	s_cbranch_execz .LBB15_15
; %bb.14:
	v_mov_b32_e32 v12, s9
	v_add_co_u32_e32 v11, vcc, s8, v3
	v_addc_co_u32_e32 v12, vcc, v12, v4, vcc
	global_store_dwordx2 v[11:12], v[7:8], off
.LBB15_15:
	s_or_b64 exec, exec, s[16:17]
	v_cmp_lt_i64_e32 vcc, v[9:10], v[1:2]
	s_and_saveexec_b64 s[16:17], vcc
	s_cbranch_execz .LBB15_21
; %bb.16:
	v_subrev_u32_e32 v7, s12, v9
	v_lshlrev_b32_e32 v8, 2, v7
	ds_read_b32 v7, v8
	s_waitcnt lgkmcnt(0)
	v_cmp_eq_u32_e32 vcc, 0, v7
	s_and_saveexec_b64 s[12:13], vcc
	s_cbranch_execz .LBB15_20
; %bb.17:
	s_mov_b64 s[18:19], 0
.LBB15_18:                              ; =>This Inner Loop Header: Depth=1
	ds_read_b32 v7, v8
	s_waitcnt lgkmcnt(0)
	v_cmp_ne_u32_e32 vcc, 0, v7
	s_or_b64 s[18:19], vcc, s[18:19]
	s_andn2_b64 exec, exec, s[18:19]
	s_cbranch_execnz .LBB15_18
; %bb.19:
	s_or_b64 exec, exec, s[18:19]
.LBB15_20:
	s_or_b64 exec, exec, s[12:13]
	v_max_i32_e32 v16, v7, v16
.LBB15_21:
	s_or_b64 exec, exec, s[16:17]
	v_mov_b32_e32 v18, v16
.LBB15_22:
	s_or_b64 exec, exec, s[4:5]
.LBB15_23:
	s_or_b64 exec, exec, s[14:15]
	v_mov_b32_dpp v7, v18 row_shr:1 row_mask:0xf bank_mask:0xf
	v_max_i32_e32 v7, v18, v7
	v_cmp_eq_u32_e32 vcc, 31, v0
	s_nop 0
	v_mov_b32_dpp v8, v7 row_shr:2 row_mask:0xf bank_mask:0xf
	v_max_i32_e32 v7, v7, v8
	s_nop 1
	v_mov_b32_dpp v8, v7 row_shr:4 row_mask:0xf bank_mask:0xe
	v_max_i32_e32 v7, v7, v8
	;; [unrolled: 3-line block ×3, first 2 shown]
	s_nop 1
	v_mov_b32_dpp v8, v7 row_bcast:15 row_mask:0xa bank_mask:0xf
	s_and_b64 exec, exec, vcc
	s_cbranch_execz .LBB15_33
; %bb.24:
	v_max_i32_e32 v0, v7, v8
	v_lshlrev_b64 v[7:8], 2, v[1:2]
	v_mov_b32_e32 v2, s11
	v_add_co_u32_e32 v7, vcc, s10, v7
	v_add_u32_e32 v0, 1, v0
	v_addc_co_u32_e32 v8, vcc, v2, v8, vcc
	ds_write_b32 v13, v0
	global_store_dword v[7:8], v0, off
	v_sub_co_u32_e32 v0, vcc, v5, v14
	s_mov_b64 s[4:5], exec
	v_subb_co_u32_e32 v2, vcc, v6, v15, vcc
	s_mov_b64 s[10:11], 0
.LBB15_25:                              ; =>This Inner Loop Header: Depth=1
	s_ff1_i32_b64 s14, s[4:5]
	v_readlane_b32 s15, v2, s14
	v_readlane_b32 s16, v0, s14
	v_mov_b32_e32 v5, s16
	v_mov_b32_e32 v6, s15
	v_cmp_gt_u64_e32 vcc, s[10:11], v[5:6]
	s_and_b64 s[12:13], vcc, exec
	s_cselect_b32 s11, s11, s15
	s_cselect_b32 s10, s10, s16
	s_lshl_b64 s[12:13], 1, s14
	s_andn2_b64 s[4:5], s[4:5], s[12:13]
	s_cmp_lg_u64 s[4:5], 0
	s_cbranch_scc1 .LBB15_25
; %bb.26:
	v_mbcnt_lo_u32_b32 v0, exec_lo, 0
	v_mbcnt_hi_u32_b32 v0, exec_hi, v0
	v_cmp_eq_u32_e32 vcc, 0, v0
	s_and_saveexec_b64 s[4:5], vcc
	s_xor_b64 s[4:5], exec, s[4:5]
	s_cbranch_execz .LBB15_28
; %bb.27:
	v_mov_b32_e32 v5, s10
	v_mov_b32_e32 v0, 0
	;; [unrolled: 1-line block ×3, first 2 shown]
	global_atomic_umax_x2 v0, v[5:6], s[0:1]
.LBB15_28:
	s_or_b64 exec, exec, s[4:5]
	v_mov_b32_e32 v0, s9
	v_add_co_u32_e32 v2, vcc, s8, v3
	v_addc_co_u32_e32 v3, vcc, v0, v4, vcc
	global_load_dwordx2 v[2:3], v[2:3], off
	s_cmp_eq_u32 s7, 0
	s_cselect_b64 s[4:5], -1, 0
	s_mov_b64 s[0:1], -1
	s_waitcnt vmcnt(0)
	v_cmp_eq_u64_e32 vcc, -1, v[2:3]
	s_and_b64 s[4:5], s[4:5], vcc
	s_and_b64 exec, exec, s[4:5]
	s_cbranch_execz .LBB15_33
; %bb.29:
	v_add_co_u32_e32 v0, vcc, s6, v1
	s_mov_b64 s[4:5], exec
	v_addc_co_u32_e64 v1, s[6:7], 0, 0, vcc
.LBB15_30:                              ; =>This Inner Loop Header: Depth=1
	s_ff1_i32_b64 s8, s[4:5]
	v_readlane_b32 s9, v1, s8
	v_readlane_b32 s10, v0, s8
	v_mov_b32_e32 v2, s10
	v_mov_b32_e32 v3, s9
	v_cmp_lt_u64_e32 vcc, s[0:1], v[2:3]
	s_and_b64 s[6:7], vcc, exec
	s_cselect_b32 s1, s1, s9
	s_cselect_b32 s0, s0, s10
	s_lshl_b64 s[6:7], 1, s8
	s_andn2_b64 s[4:5], s[4:5], s[6:7]
	s_cmp_lg_u64 s[4:5], 0
	s_cbranch_scc1 .LBB15_30
; %bb.31:
	v_mbcnt_lo_u32_b32 v0, exec_lo, 0
	v_mbcnt_hi_u32_b32 v0, exec_hi, v0
	v_cmp_eq_u32_e32 vcc, 0, v0
	s_and_saveexec_b64 s[4:5], vcc
	s_xor_b64 s[4:5], exec, s[4:5]
	s_cbranch_execz .LBB15_33
; %bb.32:
	v_mov_b32_e32 v0, s0
	v_mov_b32_e32 v2, 0
	;; [unrolled: 1-line block ×3, first 2 shown]
	global_atomic_umin_x2 v2, v[0:1], s[2:3]
.LBB15_33:
	s_endpgm
	.section	.rodata,"a",@progbits
	.p2align	6, 0x0
	.amdhsa_kernel _ZN9rocsparseL27csrsv_analysis_lower_kernelILj1024ELj32ELb0EllEEvT3_PKT2_PKS1_PS2_PiS7_PS1_21rocsparse_index_base_20rocsparse_diag_type_
		.amdhsa_group_segment_fixed_size 128
		.amdhsa_private_segment_fixed_size 0
		.amdhsa_kernarg_size 64
		.amdhsa_user_sgpr_count 6
		.amdhsa_user_sgpr_private_segment_buffer 1
		.amdhsa_user_sgpr_dispatch_ptr 0
		.amdhsa_user_sgpr_queue_ptr 0
		.amdhsa_user_sgpr_kernarg_segment_ptr 1
		.amdhsa_user_sgpr_dispatch_id 0
		.amdhsa_user_sgpr_flat_scratch_init 0
		.amdhsa_user_sgpr_private_segment_size 0
		.amdhsa_uses_dynamic_stack 0
		.amdhsa_system_sgpr_private_segment_wavefront_offset 0
		.amdhsa_system_sgpr_workgroup_id_x 1
		.amdhsa_system_sgpr_workgroup_id_y 0
		.amdhsa_system_sgpr_workgroup_id_z 0
		.amdhsa_system_sgpr_workgroup_info 0
		.amdhsa_system_vgpr_workitem_id 0
		.amdhsa_next_free_vgpr 19
		.amdhsa_next_free_sgpr 30
		.amdhsa_reserve_vcc 1
		.amdhsa_reserve_flat_scratch 0
		.amdhsa_float_round_mode_32 0
		.amdhsa_float_round_mode_16_64 0
		.amdhsa_float_denorm_mode_32 3
		.amdhsa_float_denorm_mode_16_64 3
		.amdhsa_dx10_clamp 1
		.amdhsa_ieee_mode 1
		.amdhsa_fp16_overflow 0
		.amdhsa_exception_fp_ieee_invalid_op 0
		.amdhsa_exception_fp_denorm_src 0
		.amdhsa_exception_fp_ieee_div_zero 0
		.amdhsa_exception_fp_ieee_overflow 0
		.amdhsa_exception_fp_ieee_underflow 0
		.amdhsa_exception_fp_ieee_inexact 0
		.amdhsa_exception_int_div_zero 0
	.end_amdhsa_kernel
	.section	.text._ZN9rocsparseL27csrsv_analysis_lower_kernelILj1024ELj32ELb0EllEEvT3_PKT2_PKS1_PS2_PiS7_PS1_21rocsparse_index_base_20rocsparse_diag_type_,"axG",@progbits,_ZN9rocsparseL27csrsv_analysis_lower_kernelILj1024ELj32ELb0EllEEvT3_PKT2_PKS1_PS2_PiS7_PS1_21rocsparse_index_base_20rocsparse_diag_type_,comdat
.Lfunc_end15:
	.size	_ZN9rocsparseL27csrsv_analysis_lower_kernelILj1024ELj32ELb0EllEEvT3_PKT2_PKS1_PS2_PiS7_PS1_21rocsparse_index_base_20rocsparse_diag_type_, .Lfunc_end15-_ZN9rocsparseL27csrsv_analysis_lower_kernelILj1024ELj32ELb0EllEEvT3_PKT2_PKS1_PS2_PiS7_PS1_21rocsparse_index_base_20rocsparse_diag_type_
                                        ; -- End function
	.set _ZN9rocsparseL27csrsv_analysis_lower_kernelILj1024ELj32ELb0EllEEvT3_PKT2_PKS1_PS2_PiS7_PS1_21rocsparse_index_base_20rocsparse_diag_type_.num_vgpr, 19
	.set _ZN9rocsparseL27csrsv_analysis_lower_kernelILj1024ELj32ELb0EllEEvT3_PKT2_PKS1_PS2_PiS7_PS1_21rocsparse_index_base_20rocsparse_diag_type_.num_agpr, 0
	.set _ZN9rocsparseL27csrsv_analysis_lower_kernelILj1024ELj32ELb0EllEEvT3_PKT2_PKS1_PS2_PiS7_PS1_21rocsparse_index_base_20rocsparse_diag_type_.numbered_sgpr, 30
	.set _ZN9rocsparseL27csrsv_analysis_lower_kernelILj1024ELj32ELb0EllEEvT3_PKT2_PKS1_PS2_PiS7_PS1_21rocsparse_index_base_20rocsparse_diag_type_.num_named_barrier, 0
	.set _ZN9rocsparseL27csrsv_analysis_lower_kernelILj1024ELj32ELb0EllEEvT3_PKT2_PKS1_PS2_PiS7_PS1_21rocsparse_index_base_20rocsparse_diag_type_.private_seg_size, 0
	.set _ZN9rocsparseL27csrsv_analysis_lower_kernelILj1024ELj32ELb0EllEEvT3_PKT2_PKS1_PS2_PiS7_PS1_21rocsparse_index_base_20rocsparse_diag_type_.uses_vcc, 1
	.set _ZN9rocsparseL27csrsv_analysis_lower_kernelILj1024ELj32ELb0EllEEvT3_PKT2_PKS1_PS2_PiS7_PS1_21rocsparse_index_base_20rocsparse_diag_type_.uses_flat_scratch, 0
	.set _ZN9rocsparseL27csrsv_analysis_lower_kernelILj1024ELj32ELb0EllEEvT3_PKT2_PKS1_PS2_PiS7_PS1_21rocsparse_index_base_20rocsparse_diag_type_.has_dyn_sized_stack, 0
	.set _ZN9rocsparseL27csrsv_analysis_lower_kernelILj1024ELj32ELb0EllEEvT3_PKT2_PKS1_PS2_PiS7_PS1_21rocsparse_index_base_20rocsparse_diag_type_.has_recursion, 0
	.set _ZN9rocsparseL27csrsv_analysis_lower_kernelILj1024ELj32ELb0EllEEvT3_PKT2_PKS1_PS2_PiS7_PS1_21rocsparse_index_base_20rocsparse_diag_type_.has_indirect_call, 0
	.section	.AMDGPU.csdata,"",@progbits
; Kernel info:
; codeLenInByte = 1072
; TotalNumSgprs: 34
; NumVgprs: 19
; ScratchSize: 0
; MemoryBound: 0
; FloatMode: 240
; IeeeMode: 1
; LDSByteSize: 128 bytes/workgroup (compile time only)
; SGPRBlocks: 4
; VGPRBlocks: 4
; NumSGPRsForWavesPerEU: 34
; NumVGPRsForWavesPerEU: 19
; Occupancy: 10
; WaveLimiterHint : 1
; COMPUTE_PGM_RSRC2:SCRATCH_EN: 0
; COMPUTE_PGM_RSRC2:USER_SGPR: 6
; COMPUTE_PGM_RSRC2:TRAP_HANDLER: 0
; COMPUTE_PGM_RSRC2:TGID_X_EN: 1
; COMPUTE_PGM_RSRC2:TGID_Y_EN: 0
; COMPUTE_PGM_RSRC2:TGID_Z_EN: 0
; COMPUTE_PGM_RSRC2:TIDIG_COMP_CNT: 0
	.section	.text._ZN9rocsparseL27csrsv_analysis_upper_kernelILj1024ELj64ELb0EllEEvT3_PKT2_PKS1_PS2_PiS7_PS1_21rocsparse_index_base_20rocsparse_diag_type_,"axG",@progbits,_ZN9rocsparseL27csrsv_analysis_upper_kernelILj1024ELj64ELb0EllEEvT3_PKT2_PKS1_PS2_PiS7_PS1_21rocsparse_index_base_20rocsparse_diag_type_,comdat
	.globl	_ZN9rocsparseL27csrsv_analysis_upper_kernelILj1024ELj64ELb0EllEEvT3_PKT2_PKS1_PS2_PiS7_PS1_21rocsparse_index_base_20rocsparse_diag_type_ ; -- Begin function _ZN9rocsparseL27csrsv_analysis_upper_kernelILj1024ELj64ELb0EllEEvT3_PKT2_PKS1_PS2_PiS7_PS1_21rocsparse_index_base_20rocsparse_diag_type_
	.p2align	8
	.type	_ZN9rocsparseL27csrsv_analysis_upper_kernelILj1024ELj64ELb0EllEEvT3_PKT2_PKS1_PS2_PiS7_PS1_21rocsparse_index_base_20rocsparse_diag_type_,@function
_ZN9rocsparseL27csrsv_analysis_upper_kernelILj1024ELj64ELb0EllEEvT3_PKT2_PKS1_PS2_PiS7_PS1_21rocsparse_index_base_20rocsparse_diag_type_: ; @_ZN9rocsparseL27csrsv_analysis_upper_kernelILj1024ELj64ELb0EllEEvT3_PKT2_PKS1_PS2_PiS7_PS1_21rocsparse_index_base_20rocsparse_diag_type_
; %bb.0:
	s_load_dwordx2 s[12:13], s[4:5], 0x0
	s_lshl_b32 s14, s6, 4
	s_mov_b32 s15, 0
	s_not_b64 s[0:1], s[14:15]
	v_lshrrev_b32_e32 v3, 6, v0
	s_waitcnt lgkmcnt(0)
	s_add_u32 s16, s12, s0
	s_addc_u32 s17, s13, s1
	v_mov_b32_e32 v2, s17
	v_sub_co_u32_e32 v1, vcc, s16, v3
	v_subbrev_co_u32_e32 v2, vcc, 0, v2, vcc
	v_cmp_lt_i64_e32 vcc, -1, v[1:2]
	v_mov_b32_e32 v4, 0
	v_lshlrev_b32_e32 v13, 2, v3
	ds_write_b32 v13, v4
	s_waitcnt lgkmcnt(0)
	s_barrier
	s_and_saveexec_b64 s[0:1], vcc
	s_cbranch_execz .LBB16_33
; %bb.1:
	s_load_dwordx2 s[0:1], s[4:5], 0x8
	s_load_dwordx4 s[8:11], s[4:5], 0x18
	v_and_b32_e32 v0, 63, v0
	v_lshlrev_b64 v[3:4], 3, v[1:2]
	v_cmp_eq_u32_e32 vcc, 0, v0
	s_and_saveexec_b64 s[2:3], vcc
	s_cbranch_execz .LBB16_3
; %bb.2:
	s_waitcnt lgkmcnt(0)
	v_mov_b32_e32 v6, s9
	v_add_co_u32_e32 v5, vcc, s8, v3
	v_mov_b32_e32 v7, -1
	v_addc_co_u32_e32 v6, vcc, v6, v4, vcc
	v_mov_b32_e32 v8, v7
	global_store_dwordx2 v[5:6], v[7:8], off
.LBB16_3:
	s_or_b64 exec, exec, s[2:3]
	s_waitcnt lgkmcnt(0)
	v_mov_b32_e32 v6, s1
	v_add_co_u32_e32 v5, vcc, s0, v3
	v_addc_co_u32_e32 v6, vcc, v6, v4, vcc
	global_load_dwordx4 v[5:8], v[5:6], off
	s_load_dwordx2 s[6:7], s[4:5], 0x38
	s_load_dwordx4 s[0:3], s[4:5], 0x28
	v_not_b32_e32 v9, v0
	v_ashrrev_i32_e32 v10, 31, v9
	v_mov_b32_e32 v18, 0
	s_waitcnt vmcnt(0) lgkmcnt(0)
	v_subrev_co_u32_e32 v5, vcc, s6, v5
	v_subbrev_co_u32_e32 v6, vcc, 0, v6, vcc
	v_subrev_co_u32_e32 v14, vcc, s6, v7
	v_subbrev_co_u32_e32 v15, vcc, 0, v8, vcc
	v_add_co_u32_e32 v11, vcc, v14, v9
	v_addc_co_u32_e32 v12, vcc, v15, v10, vcc
	v_cmp_ge_i64_e32 vcc, v[11:12], v[5:6]
	s_and_saveexec_b64 s[18:19], vcc
	s_cbranch_execz .LBB16_23
; %bb.4:
	s_load_dwordx2 s[4:5], s[4:5], 0x10
	v_mov_b32_e32 v18, 0
	s_mov_b64 s[20:21], 0
                                        ; implicit-def: $sgpr22_sgpr23
                                        ; implicit-def: $sgpr26_sgpr27
                                        ; implicit-def: $sgpr24_sgpr25
	s_waitcnt lgkmcnt(0)
	v_mov_b32_e32 v17, s5
	s_branch .LBB16_7
.LBB16_5:                               ;   in Loop: Header=BB16_7 Depth=1
	s_or_b64 exec, exec, s[30:31]
	v_add_co_u32_e32 v11, vcc, 0xffffffc0, v9
	v_addc_co_u32_e32 v12, vcc, -1, v10, vcc
	v_cmp_lt_i64_e32 vcc, v[11:12], v[5:6]
	s_andn2_b64 s[26:27], s[26:27], exec
	s_and_b64 s[30:31], vcc, exec
	v_max_i32_e32 v18, v18, v16
	s_andn2_b64 s[24:25], s[24:25], exec
	s_or_b64 s[26:27], s[26:27], s[30:31]
.LBB16_6:                               ;   in Loop: Header=BB16_7 Depth=1
	s_or_b64 exec, exec, s[28:29]
	s_and_b64 s[28:29], exec, s[26:27]
	s_or_b64 s[20:21], s[28:29], s[20:21]
	s_andn2_b64 s[22:23], s[22:23], exec
	s_and_b64 s[28:29], s[24:25], exec
	s_or_b64 s[22:23], s[22:23], s[28:29]
	s_andn2_b64 exec, exec, s[20:21]
	s_cbranch_execz .LBB16_12
.LBB16_7:                               ; =>This Loop Header: Depth=1
                                        ;     Child Loop BB16_10 Depth 2
	v_mov_b32_e32 v9, v11
	v_mov_b32_e32 v10, v12
	v_lshlrev_b64 v[7:8], 3, v[9:10]
	v_mov_b32_e32 v16, v18
	v_add_co_u32_e32 v7, vcc, s4, v7
	v_addc_co_u32_e32 v8, vcc, v17, v8, vcc
	global_load_dwordx2 v[7:8], v[7:8], off glc slc
	s_or_b64 s[24:25], s[24:25], exec
	s_or_b64 s[26:27], s[26:27], exec
                                        ; implicit-def: $vgpr11_vgpr12
                                        ; implicit-def: $vgpr18
	s_waitcnt vmcnt(0)
	v_subrev_co_u32_e32 v7, vcc, s6, v7
	v_subbrev_co_u32_e32 v8, vcc, 0, v8, vcc
	v_cmp_lt_i64_e32 vcc, s[16:17], v[7:8]
	s_and_saveexec_b64 s[28:29], vcc
	s_cbranch_execz .LBB16_6
; %bb.8:                                ;   in Loop: Header=BB16_7 Depth=1
	v_lshlrev_b64 v[11:12], 2, v[7:8]
	v_mov_b32_e32 v18, s11
	v_add_co_u32_e32 v11, vcc, s10, v11
	v_addc_co_u32_e32 v12, vcc, v18, v12, vcc
	global_load_dword v18, v[11:12], off glc
	s_waitcnt vmcnt(0)
	v_cmp_eq_u32_e32 vcc, 0, v18
	s_and_saveexec_b64 s[30:31], vcc
	s_cbranch_execz .LBB16_5
; %bb.9:                                ;   in Loop: Header=BB16_7 Depth=1
	s_mov_b64 s[34:35], 0
.LBB16_10:                              ;   Parent Loop BB16_7 Depth=1
                                        ; =>  This Inner Loop Header: Depth=2
	global_load_dword v18, v[11:12], off glc
	s_waitcnt vmcnt(0)
	v_cmp_ne_u32_e32 vcc, 0, v18
	s_or_b64 s[34:35], vcc, s[34:35]
	s_andn2_b64 exec, exec, s[34:35]
	s_cbranch_execnz .LBB16_10
; %bb.11:                               ;   in Loop: Header=BB16_7 Depth=1
	s_or_b64 exec, exec, s[34:35]
	s_branch .LBB16_5
.LBB16_12:
	s_or_b64 exec, exec, s[20:21]
	s_and_saveexec_b64 s[4:5], s[22:23]
	s_xor_b64 s[4:5], exec, s[4:5]
	s_cbranch_execz .LBB16_22
; %bb.13:
	v_cmp_eq_u64_e32 vcc, v[7:8], v[1:2]
	s_and_saveexec_b64 s[16:17], vcc
	s_cbranch_execz .LBB16_15
; %bb.14:
	v_mov_b32_e32 v12, s9
	v_add_co_u32_e32 v11, vcc, s8, v3
	v_addc_co_u32_e32 v12, vcc, v12, v4, vcc
	global_store_dwordx2 v[11:12], v[9:10], off
.LBB16_15:
	s_or_b64 exec, exec, s[16:17]
	v_cmp_gt_i64_e32 vcc, v[7:8], v[1:2]
	s_and_saveexec_b64 s[16:17], vcc
	s_cbranch_execz .LBB16_21
; %bb.16:
	s_xor_b32 s13, s14, 0x3ffffff0
	s_add_i32 s12, s12, s13
	v_sub_u32_e32 v7, s12, v7
	v_lshlrev_b32_e32 v8, 2, v7
	ds_read_b32 v7, v8 offset:60
	s_waitcnt lgkmcnt(0)
	v_cmp_eq_u32_e32 vcc, 0, v7
	s_and_saveexec_b64 s[12:13], vcc
	s_cbranch_execz .LBB16_20
; %bb.17:
	s_mov_b64 s[14:15], 0
.LBB16_18:                              ; =>This Inner Loop Header: Depth=1
	ds_read_b32 v7, v8 offset:60
	s_waitcnt lgkmcnt(0)
	v_cmp_ne_u32_e32 vcc, 0, v7
	s_or_b64 s[14:15], vcc, s[14:15]
	s_andn2_b64 exec, exec, s[14:15]
	s_cbranch_execnz .LBB16_18
; %bb.19:
	s_or_b64 exec, exec, s[14:15]
.LBB16_20:
	s_or_b64 exec, exec, s[12:13]
	v_max_i32_e32 v16, v7, v16
.LBB16_21:
	s_or_b64 exec, exec, s[16:17]
	v_mov_b32_e32 v18, v16
.LBB16_22:
	s_or_b64 exec, exec, s[4:5]
.LBB16_23:
	s_or_b64 exec, exec, s[18:19]
	v_mov_b32_dpp v7, v18 row_shr:1 row_mask:0xf bank_mask:0xf
	v_max_i32_e32 v7, v18, v7
	v_cmp_eq_u32_e32 vcc, 63, v0
	s_nop 0
	v_mov_b32_dpp v8, v7 row_shr:2 row_mask:0xf bank_mask:0xf
	v_max_i32_e32 v7, v7, v8
	s_nop 1
	v_mov_b32_dpp v8, v7 row_shr:4 row_mask:0xf bank_mask:0xe
	v_max_i32_e32 v7, v7, v8
	;; [unrolled: 3-line block ×3, first 2 shown]
	s_nop 1
	v_mov_b32_dpp v8, v7 row_bcast:15 row_mask:0xa bank_mask:0xf
	v_max_i32_e32 v7, v7, v8
	s_nop 1
	v_mov_b32_dpp v8, v7 row_bcast:31 row_mask:0xc bank_mask:0xf
	s_and_b64 exec, exec, vcc
	s_cbranch_execz .LBB16_33
; %bb.24:
	v_max_i32_e32 v0, v7, v8
	v_lshlrev_b64 v[7:8], 2, v[1:2]
	v_mov_b32_e32 v9, s11
	v_add_co_u32_e32 v7, vcc, s10, v7
	v_add_u32_e32 v0, 1, v0
	v_addc_co_u32_e32 v8, vcc, v9, v8, vcc
	ds_write_b32 v13, v0
	global_store_dword v[7:8], v0, off
	v_sub_co_u32_e32 v0, vcc, v14, v5
	s_mov_b64 s[4:5], exec
	v_subb_co_u32_e32 v5, vcc, v15, v6, vcc
	s_mov_b64 s[10:11], 0
.LBB16_25:                              ; =>This Inner Loop Header: Depth=1
	s_ff1_i32_b64 s14, s[4:5]
	v_readlane_b32 s15, v5, s14
	v_readlane_b32 s16, v0, s14
	v_mov_b32_e32 v6, s16
	v_mov_b32_e32 v7, s15
	v_cmp_gt_u64_e32 vcc, s[10:11], v[6:7]
	s_and_b64 s[12:13], vcc, exec
	s_cselect_b32 s11, s11, s15
	s_cselect_b32 s10, s10, s16
	s_lshl_b64 s[12:13], 1, s14
	s_andn2_b64 s[4:5], s[4:5], s[12:13]
	s_cmp_lg_u64 s[4:5], 0
	s_cbranch_scc1 .LBB16_25
; %bb.26:
	v_mbcnt_lo_u32_b32 v0, exec_lo, 0
	v_mbcnt_hi_u32_b32 v0, exec_hi, v0
	v_cmp_eq_u32_e32 vcc, 0, v0
	s_and_saveexec_b64 s[4:5], vcc
	s_xor_b64 s[4:5], exec, s[4:5]
	s_cbranch_execz .LBB16_28
; %bb.27:
	v_mov_b32_e32 v5, s10
	v_mov_b32_e32 v0, 0
	;; [unrolled: 1-line block ×3, first 2 shown]
	global_atomic_umax_x2 v0, v[5:6], s[0:1]
.LBB16_28:
	s_or_b64 exec, exec, s[4:5]
	v_mov_b32_e32 v0, s9
	v_add_co_u32_e32 v3, vcc, s8, v3
	v_addc_co_u32_e32 v4, vcc, v0, v4, vcc
	global_load_dwordx2 v[3:4], v[3:4], off
	s_cmp_eq_u32 s7, 0
	s_cselect_b64 s[4:5], -1, 0
	s_mov_b64 s[0:1], -1
	s_waitcnt vmcnt(0)
	v_cmp_eq_u64_e32 vcc, -1, v[3:4]
	s_and_b64 s[4:5], s[4:5], vcc
	s_and_b64 exec, exec, s[4:5]
	s_cbranch_execz .LBB16_33
; %bb.29:
	v_add_co_u32_e32 v0, vcc, s6, v1
	s_mov_b64 s[4:5], exec
	v_addc_co_u32_e32 v1, vcc, 0, v2, vcc
.LBB16_30:                              ; =>This Inner Loop Header: Depth=1
	s_ff1_i32_b64 s8, s[4:5]
	v_readlane_b32 s9, v1, s8
	v_readlane_b32 s10, v0, s8
	v_mov_b32_e32 v2, s10
	v_mov_b32_e32 v3, s9
	v_cmp_lt_u64_e32 vcc, s[0:1], v[2:3]
	s_and_b64 s[6:7], vcc, exec
	s_cselect_b32 s1, s1, s9
	s_cselect_b32 s0, s0, s10
	s_lshl_b64 s[6:7], 1, s8
	s_andn2_b64 s[4:5], s[4:5], s[6:7]
	s_cmp_lg_u64 s[4:5], 0
	s_cbranch_scc1 .LBB16_30
; %bb.31:
	v_mbcnt_lo_u32_b32 v0, exec_lo, 0
	v_mbcnt_hi_u32_b32 v0, exec_hi, v0
	v_cmp_eq_u32_e32 vcc, 0, v0
	s_and_saveexec_b64 s[4:5], vcc
	s_xor_b64 s[4:5], exec, s[4:5]
	s_cbranch_execz .LBB16_33
; %bb.32:
	v_mov_b32_e32 v0, s0
	v_mov_b32_e32 v2, 0
	v_mov_b32_e32 v1, s1
	global_atomic_umin_x2 v2, v[0:1], s[2:3]
.LBB16_33:
	s_endpgm
	.section	.rodata,"a",@progbits
	.p2align	6, 0x0
	.amdhsa_kernel _ZN9rocsparseL27csrsv_analysis_upper_kernelILj1024ELj64ELb0EllEEvT3_PKT2_PKS1_PS2_PiS7_PS1_21rocsparse_index_base_20rocsparse_diag_type_
		.amdhsa_group_segment_fixed_size 64
		.amdhsa_private_segment_fixed_size 0
		.amdhsa_kernarg_size 64
		.amdhsa_user_sgpr_count 6
		.amdhsa_user_sgpr_private_segment_buffer 1
		.amdhsa_user_sgpr_dispatch_ptr 0
		.amdhsa_user_sgpr_queue_ptr 0
		.amdhsa_user_sgpr_kernarg_segment_ptr 1
		.amdhsa_user_sgpr_dispatch_id 0
		.amdhsa_user_sgpr_flat_scratch_init 0
		.amdhsa_user_sgpr_private_segment_size 0
		.amdhsa_uses_dynamic_stack 0
		.amdhsa_system_sgpr_private_segment_wavefront_offset 0
		.amdhsa_system_sgpr_workgroup_id_x 1
		.amdhsa_system_sgpr_workgroup_id_y 0
		.amdhsa_system_sgpr_workgroup_id_z 0
		.amdhsa_system_sgpr_workgroup_info 0
		.amdhsa_system_vgpr_workitem_id 0
		.amdhsa_next_free_vgpr 19
		.amdhsa_next_free_sgpr 36
		.amdhsa_reserve_vcc 1
		.amdhsa_reserve_flat_scratch 0
		.amdhsa_float_round_mode_32 0
		.amdhsa_float_round_mode_16_64 0
		.amdhsa_float_denorm_mode_32 3
		.amdhsa_float_denorm_mode_16_64 3
		.amdhsa_dx10_clamp 1
		.amdhsa_ieee_mode 1
		.amdhsa_fp16_overflow 0
		.amdhsa_exception_fp_ieee_invalid_op 0
		.amdhsa_exception_fp_denorm_src 0
		.amdhsa_exception_fp_ieee_div_zero 0
		.amdhsa_exception_fp_ieee_overflow 0
		.amdhsa_exception_fp_ieee_underflow 0
		.amdhsa_exception_fp_ieee_inexact 0
		.amdhsa_exception_int_div_zero 0
	.end_amdhsa_kernel
	.section	.text._ZN9rocsparseL27csrsv_analysis_upper_kernelILj1024ELj64ELb0EllEEvT3_PKT2_PKS1_PS2_PiS7_PS1_21rocsparse_index_base_20rocsparse_diag_type_,"axG",@progbits,_ZN9rocsparseL27csrsv_analysis_upper_kernelILj1024ELj64ELb0EllEEvT3_PKT2_PKS1_PS2_PiS7_PS1_21rocsparse_index_base_20rocsparse_diag_type_,comdat
.Lfunc_end16:
	.size	_ZN9rocsparseL27csrsv_analysis_upper_kernelILj1024ELj64ELb0EllEEvT3_PKT2_PKS1_PS2_PiS7_PS1_21rocsparse_index_base_20rocsparse_diag_type_, .Lfunc_end16-_ZN9rocsparseL27csrsv_analysis_upper_kernelILj1024ELj64ELb0EllEEvT3_PKT2_PKS1_PS2_PiS7_PS1_21rocsparse_index_base_20rocsparse_diag_type_
                                        ; -- End function
	.set _ZN9rocsparseL27csrsv_analysis_upper_kernelILj1024ELj64ELb0EllEEvT3_PKT2_PKS1_PS2_PiS7_PS1_21rocsparse_index_base_20rocsparse_diag_type_.num_vgpr, 19
	.set _ZN9rocsparseL27csrsv_analysis_upper_kernelILj1024ELj64ELb0EllEEvT3_PKT2_PKS1_PS2_PiS7_PS1_21rocsparse_index_base_20rocsparse_diag_type_.num_agpr, 0
	.set _ZN9rocsparseL27csrsv_analysis_upper_kernelILj1024ELj64ELb0EllEEvT3_PKT2_PKS1_PS2_PiS7_PS1_21rocsparse_index_base_20rocsparse_diag_type_.numbered_sgpr, 36
	.set _ZN9rocsparseL27csrsv_analysis_upper_kernelILj1024ELj64ELb0EllEEvT3_PKT2_PKS1_PS2_PiS7_PS1_21rocsparse_index_base_20rocsparse_diag_type_.num_named_barrier, 0
	.set _ZN9rocsparseL27csrsv_analysis_upper_kernelILj1024ELj64ELb0EllEEvT3_PKT2_PKS1_PS2_PiS7_PS1_21rocsparse_index_base_20rocsparse_diag_type_.private_seg_size, 0
	.set _ZN9rocsparseL27csrsv_analysis_upper_kernelILj1024ELj64ELb0EllEEvT3_PKT2_PKS1_PS2_PiS7_PS1_21rocsparse_index_base_20rocsparse_diag_type_.uses_vcc, 1
	.set _ZN9rocsparseL27csrsv_analysis_upper_kernelILj1024ELj64ELb0EllEEvT3_PKT2_PKS1_PS2_PiS7_PS1_21rocsparse_index_base_20rocsparse_diag_type_.uses_flat_scratch, 0
	.set _ZN9rocsparseL27csrsv_analysis_upper_kernelILj1024ELj64ELb0EllEEvT3_PKT2_PKS1_PS2_PiS7_PS1_21rocsparse_index_base_20rocsparse_diag_type_.has_dyn_sized_stack, 0
	.set _ZN9rocsparseL27csrsv_analysis_upper_kernelILj1024ELj64ELb0EllEEvT3_PKT2_PKS1_PS2_PiS7_PS1_21rocsparse_index_base_20rocsparse_diag_type_.has_recursion, 0
	.set _ZN9rocsparseL27csrsv_analysis_upper_kernelILj1024ELj64ELb0EllEEvT3_PKT2_PKS1_PS2_PiS7_PS1_21rocsparse_index_base_20rocsparse_diag_type_.has_indirect_call, 0
	.section	.AMDGPU.csdata,"",@progbits
; Kernel info:
; codeLenInByte = 1128
; TotalNumSgprs: 40
; NumVgprs: 19
; ScratchSize: 0
; MemoryBound: 0
; FloatMode: 240
; IeeeMode: 1
; LDSByteSize: 64 bytes/workgroup (compile time only)
; SGPRBlocks: 4
; VGPRBlocks: 4
; NumSGPRsForWavesPerEU: 40
; NumVGPRsForWavesPerEU: 19
; Occupancy: 10
; WaveLimiterHint : 1
; COMPUTE_PGM_RSRC2:SCRATCH_EN: 0
; COMPUTE_PGM_RSRC2:USER_SGPR: 6
; COMPUTE_PGM_RSRC2:TRAP_HANDLER: 0
; COMPUTE_PGM_RSRC2:TGID_X_EN: 1
; COMPUTE_PGM_RSRC2:TGID_Y_EN: 0
; COMPUTE_PGM_RSRC2:TGID_Z_EN: 0
; COMPUTE_PGM_RSRC2:TIDIG_COMP_CNT: 0
	.section	.text._ZN9rocsparseL27csrsv_analysis_lower_kernelILj1024ELj64ELb0EllEEvT3_PKT2_PKS1_PS2_PiS7_PS1_21rocsparse_index_base_20rocsparse_diag_type_,"axG",@progbits,_ZN9rocsparseL27csrsv_analysis_lower_kernelILj1024ELj64ELb0EllEEvT3_PKT2_PKS1_PS2_PiS7_PS1_21rocsparse_index_base_20rocsparse_diag_type_,comdat
	.globl	_ZN9rocsparseL27csrsv_analysis_lower_kernelILj1024ELj64ELb0EllEEvT3_PKT2_PKS1_PS2_PiS7_PS1_21rocsparse_index_base_20rocsparse_diag_type_ ; -- Begin function _ZN9rocsparseL27csrsv_analysis_lower_kernelILj1024ELj64ELb0EllEEvT3_PKT2_PKS1_PS2_PiS7_PS1_21rocsparse_index_base_20rocsparse_diag_type_
	.p2align	8
	.type	_ZN9rocsparseL27csrsv_analysis_lower_kernelILj1024ELj64ELb0EllEEvT3_PKT2_PKS1_PS2_PiS7_PS1_21rocsparse_index_base_20rocsparse_diag_type_,@function
_ZN9rocsparseL27csrsv_analysis_lower_kernelILj1024ELj64ELb0EllEEvT3_PKT2_PKS1_PS2_PiS7_PS1_21rocsparse_index_base_20rocsparse_diag_type_: ; @_ZN9rocsparseL27csrsv_analysis_lower_kernelILj1024ELj64ELb0EllEEvT3_PKT2_PKS1_PS2_PiS7_PS1_21rocsparse_index_base_20rocsparse_diag_type_
; %bb.0:
	s_load_dwordx2 s[0:1], s[4:5], 0x0
	v_lshrrev_b32_e32 v3, 6, v0
	s_lshl_b32 s12, s6, 4
	v_or_b32_e32 v1, s12, v3
	v_mov_b32_e32 v2, 0
	s_waitcnt lgkmcnt(0)
	v_cmp_gt_i64_e32 vcc, s[0:1], v[1:2]
	v_lshlrev_b32_e32 v13, 2, v3
	ds_write_b32 v13, v2
	s_waitcnt lgkmcnt(0)
	s_barrier
	s_and_saveexec_b64 s[0:1], vcc
	s_cbranch_execz .LBB17_33
; %bb.1:
	s_load_dwordx2 s[0:1], s[4:5], 0x8
	s_load_dwordx4 s[8:11], s[4:5], 0x18
	v_and_b32_e32 v0, 63, v0
	v_lshlrev_b64 v[3:4], 3, v[1:2]
	v_cmp_eq_u32_e32 vcc, 0, v0
	s_and_saveexec_b64 s[2:3], vcc
	s_cbranch_execz .LBB17_3
; %bb.2:
	s_waitcnt lgkmcnt(0)
	v_mov_b32_e32 v6, s9
	v_add_co_u32_e32 v5, vcc, s8, v3
	v_mov_b32_e32 v7, -1
	v_addc_co_u32_e32 v6, vcc, v6, v4, vcc
	v_mov_b32_e32 v8, v7
	global_store_dwordx2 v[5:6], v[7:8], off
.LBB17_3:
	s_or_b64 exec, exec, s[2:3]
	s_waitcnt lgkmcnt(0)
	v_mov_b32_e32 v6, s1
	v_add_co_u32_e32 v5, vcc, s0, v3
	v_addc_co_u32_e32 v6, vcc, v6, v4, vcc
	global_load_dwordx4 v[5:8], v[5:6], off
	s_load_dwordx2 s[6:7], s[4:5], 0x38
	s_load_dwordx4 s[0:3], s[4:5], 0x28
	v_mov_b32_e32 v18, 0
	s_waitcnt vmcnt(0) lgkmcnt(0)
	v_subrev_co_u32_e32 v14, vcc, s6, v5
	v_subbrev_co_u32_e32 v15, vcc, 0, v6, vcc
	v_subrev_co_u32_e32 v5, vcc, s6, v7
	v_subbrev_co_u32_e32 v6, vcc, 0, v8, vcc
	v_add_co_u32_e32 v11, vcc, v14, v0
	v_addc_co_u32_e32 v12, vcc, 0, v15, vcc
	v_cmp_lt_i64_e32 vcc, v[11:12], v[5:6]
	s_and_saveexec_b64 s[14:15], vcc
	s_cbranch_execz .LBB17_23
; %bb.4:
	s_load_dwordx2 s[4:5], s[4:5], 0x10
	s_mov_b32 s13, 0
	v_mov_b32_e32 v18, 0
	s_mov_b64 s[16:17], 0
                                        ; implicit-def: $sgpr18_sgpr19
                                        ; implicit-def: $sgpr22_sgpr23
                                        ; implicit-def: $sgpr20_sgpr21
	s_waitcnt lgkmcnt(0)
	v_mov_b32_e32 v17, s5
	s_branch .LBB17_7
.LBB17_5:                               ;   in Loop: Header=BB17_7 Depth=1
	s_or_b64 exec, exec, s[26:27]
	v_add_co_u32_e32 v11, vcc, 64, v7
	v_addc_co_u32_e32 v12, vcc, 0, v8, vcc
	v_cmp_ge_i64_e32 vcc, v[11:12], v[5:6]
	s_andn2_b64 s[22:23], s[22:23], exec
	s_and_b64 s[26:27], vcc, exec
	v_max_i32_e32 v18, v18, v16
	s_andn2_b64 s[20:21], s[20:21], exec
	s_or_b64 s[22:23], s[22:23], s[26:27]
.LBB17_6:                               ;   in Loop: Header=BB17_7 Depth=1
	s_or_b64 exec, exec, s[24:25]
	s_and_b64 s[24:25], exec, s[22:23]
	s_or_b64 s[16:17], s[24:25], s[16:17]
	s_andn2_b64 s[18:19], s[18:19], exec
	s_and_b64 s[24:25], s[20:21], exec
	s_or_b64 s[18:19], s[18:19], s[24:25]
	s_andn2_b64 exec, exec, s[16:17]
	s_cbranch_execz .LBB17_12
.LBB17_7:                               ; =>This Loop Header: Depth=1
                                        ;     Child Loop BB17_10 Depth 2
	v_mov_b32_e32 v7, v11
	v_mov_b32_e32 v8, v12
	v_lshlrev_b64 v[9:10], 3, v[7:8]
	v_mov_b32_e32 v16, v18
	v_add_co_u32_e32 v9, vcc, s4, v9
	v_addc_co_u32_e32 v10, vcc, v17, v10, vcc
	global_load_dwordx2 v[9:10], v[9:10], off glc slc
	s_or_b64 s[20:21], s[20:21], exec
	s_or_b64 s[22:23], s[22:23], exec
                                        ; implicit-def: $vgpr11_vgpr12
                                        ; implicit-def: $vgpr18
	s_waitcnt vmcnt(0)
	v_subrev_co_u32_e32 v9, vcc, s6, v9
	v_subbrev_co_u32_e32 v10, vcc, 0, v10, vcc
	v_cmp_gt_i64_e32 vcc, s[12:13], v[9:10]
	s_and_saveexec_b64 s[24:25], vcc
	s_cbranch_execz .LBB17_6
; %bb.8:                                ;   in Loop: Header=BB17_7 Depth=1
	v_lshlrev_b64 v[11:12], 2, v[9:10]
	v_mov_b32_e32 v18, s11
	v_add_co_u32_e32 v11, vcc, s10, v11
	v_addc_co_u32_e32 v12, vcc, v18, v12, vcc
	global_load_dword v18, v[11:12], off glc
	s_waitcnt vmcnt(0)
	v_cmp_eq_u32_e32 vcc, 0, v18
	s_and_saveexec_b64 s[26:27], vcc
	s_cbranch_execz .LBB17_5
; %bb.9:                                ;   in Loop: Header=BB17_7 Depth=1
	s_mov_b64 s[28:29], 0
.LBB17_10:                              ;   Parent Loop BB17_7 Depth=1
                                        ; =>  This Inner Loop Header: Depth=2
	global_load_dword v18, v[11:12], off glc
	s_waitcnt vmcnt(0)
	v_cmp_ne_u32_e32 vcc, 0, v18
	s_or_b64 s[28:29], vcc, s[28:29]
	s_andn2_b64 exec, exec, s[28:29]
	s_cbranch_execnz .LBB17_10
; %bb.11:                               ;   in Loop: Header=BB17_7 Depth=1
	s_or_b64 exec, exec, s[28:29]
	s_branch .LBB17_5
.LBB17_12:
	s_or_b64 exec, exec, s[16:17]
	s_and_saveexec_b64 s[4:5], s[18:19]
	s_xor_b64 s[4:5], exec, s[4:5]
	s_cbranch_execz .LBB17_22
; %bb.13:
	v_cmp_eq_u64_e32 vcc, v[9:10], v[1:2]
	s_and_saveexec_b64 s[16:17], vcc
	s_cbranch_execz .LBB17_15
; %bb.14:
	v_mov_b32_e32 v12, s9
	v_add_co_u32_e32 v11, vcc, s8, v3
	v_addc_co_u32_e32 v12, vcc, v12, v4, vcc
	global_store_dwordx2 v[11:12], v[7:8], off
.LBB17_15:
	s_or_b64 exec, exec, s[16:17]
	v_cmp_lt_i64_e32 vcc, v[9:10], v[1:2]
	s_and_saveexec_b64 s[16:17], vcc
	s_cbranch_execz .LBB17_21
; %bb.16:
	v_subrev_u32_e32 v7, s12, v9
	v_lshlrev_b32_e32 v8, 2, v7
	ds_read_b32 v7, v8
	s_waitcnt lgkmcnt(0)
	v_cmp_eq_u32_e32 vcc, 0, v7
	s_and_saveexec_b64 s[12:13], vcc
	s_cbranch_execz .LBB17_20
; %bb.17:
	s_mov_b64 s[18:19], 0
.LBB17_18:                              ; =>This Inner Loop Header: Depth=1
	ds_read_b32 v7, v8
	s_waitcnt lgkmcnt(0)
	v_cmp_ne_u32_e32 vcc, 0, v7
	s_or_b64 s[18:19], vcc, s[18:19]
	s_andn2_b64 exec, exec, s[18:19]
	s_cbranch_execnz .LBB17_18
; %bb.19:
	s_or_b64 exec, exec, s[18:19]
.LBB17_20:
	s_or_b64 exec, exec, s[12:13]
	v_max_i32_e32 v16, v7, v16
.LBB17_21:
	s_or_b64 exec, exec, s[16:17]
	v_mov_b32_e32 v18, v16
.LBB17_22:
	s_or_b64 exec, exec, s[4:5]
.LBB17_23:
	s_or_b64 exec, exec, s[14:15]
	v_mov_b32_dpp v7, v18 row_shr:1 row_mask:0xf bank_mask:0xf
	v_max_i32_e32 v7, v18, v7
	v_cmp_eq_u32_e32 vcc, 63, v0
	s_nop 0
	v_mov_b32_dpp v8, v7 row_shr:2 row_mask:0xf bank_mask:0xf
	v_max_i32_e32 v7, v7, v8
	s_nop 1
	v_mov_b32_dpp v8, v7 row_shr:4 row_mask:0xf bank_mask:0xe
	v_max_i32_e32 v7, v7, v8
	;; [unrolled: 3-line block ×3, first 2 shown]
	s_nop 1
	v_mov_b32_dpp v8, v7 row_bcast:15 row_mask:0xa bank_mask:0xf
	v_max_i32_e32 v7, v7, v8
	s_nop 1
	v_mov_b32_dpp v8, v7 row_bcast:31 row_mask:0xc bank_mask:0xf
	s_and_b64 exec, exec, vcc
	s_cbranch_execz .LBB17_33
; %bb.24:
	v_max_i32_e32 v0, v7, v8
	v_lshlrev_b64 v[7:8], 2, v[1:2]
	v_mov_b32_e32 v2, s11
	v_add_co_u32_e32 v7, vcc, s10, v7
	v_add_u32_e32 v0, 1, v0
	v_addc_co_u32_e32 v8, vcc, v2, v8, vcc
	ds_write_b32 v13, v0
	global_store_dword v[7:8], v0, off
	v_sub_co_u32_e32 v0, vcc, v5, v14
	s_mov_b64 s[4:5], exec
	v_subb_co_u32_e32 v2, vcc, v6, v15, vcc
	s_mov_b64 s[10:11], 0
.LBB17_25:                              ; =>This Inner Loop Header: Depth=1
	s_ff1_i32_b64 s14, s[4:5]
	v_readlane_b32 s15, v2, s14
	v_readlane_b32 s16, v0, s14
	v_mov_b32_e32 v5, s16
	v_mov_b32_e32 v6, s15
	v_cmp_gt_u64_e32 vcc, s[10:11], v[5:6]
	s_and_b64 s[12:13], vcc, exec
	s_cselect_b32 s11, s11, s15
	s_cselect_b32 s10, s10, s16
	s_lshl_b64 s[12:13], 1, s14
	s_andn2_b64 s[4:5], s[4:5], s[12:13]
	s_cmp_lg_u64 s[4:5], 0
	s_cbranch_scc1 .LBB17_25
; %bb.26:
	v_mbcnt_lo_u32_b32 v0, exec_lo, 0
	v_mbcnt_hi_u32_b32 v0, exec_hi, v0
	v_cmp_eq_u32_e32 vcc, 0, v0
	s_and_saveexec_b64 s[4:5], vcc
	s_xor_b64 s[4:5], exec, s[4:5]
	s_cbranch_execz .LBB17_28
; %bb.27:
	v_mov_b32_e32 v5, s10
	v_mov_b32_e32 v0, 0
	;; [unrolled: 1-line block ×3, first 2 shown]
	global_atomic_umax_x2 v0, v[5:6], s[0:1]
.LBB17_28:
	s_or_b64 exec, exec, s[4:5]
	v_mov_b32_e32 v0, s9
	v_add_co_u32_e32 v2, vcc, s8, v3
	v_addc_co_u32_e32 v3, vcc, v0, v4, vcc
	global_load_dwordx2 v[2:3], v[2:3], off
	s_cmp_eq_u32 s7, 0
	s_cselect_b64 s[4:5], -1, 0
	s_mov_b64 s[0:1], -1
	s_waitcnt vmcnt(0)
	v_cmp_eq_u64_e32 vcc, -1, v[2:3]
	s_and_b64 s[4:5], s[4:5], vcc
	s_and_b64 exec, exec, s[4:5]
	s_cbranch_execz .LBB17_33
; %bb.29:
	v_add_co_u32_e32 v0, vcc, s6, v1
	s_mov_b64 s[4:5], exec
	v_addc_co_u32_e64 v1, s[6:7], 0, 0, vcc
.LBB17_30:                              ; =>This Inner Loop Header: Depth=1
	s_ff1_i32_b64 s8, s[4:5]
	v_readlane_b32 s9, v1, s8
	v_readlane_b32 s10, v0, s8
	v_mov_b32_e32 v2, s10
	v_mov_b32_e32 v3, s9
	v_cmp_lt_u64_e32 vcc, s[0:1], v[2:3]
	s_and_b64 s[6:7], vcc, exec
	s_cselect_b32 s1, s1, s9
	s_cselect_b32 s0, s0, s10
	s_lshl_b64 s[6:7], 1, s8
	s_andn2_b64 s[4:5], s[4:5], s[6:7]
	s_cmp_lg_u64 s[4:5], 0
	s_cbranch_scc1 .LBB17_30
; %bb.31:
	v_mbcnt_lo_u32_b32 v0, exec_lo, 0
	v_mbcnt_hi_u32_b32 v0, exec_hi, v0
	v_cmp_eq_u32_e32 vcc, 0, v0
	s_and_saveexec_b64 s[4:5], vcc
	s_xor_b64 s[4:5], exec, s[4:5]
	s_cbranch_execz .LBB17_33
; %bb.32:
	v_mov_b32_e32 v0, s0
	v_mov_b32_e32 v2, 0
	;; [unrolled: 1-line block ×3, first 2 shown]
	global_atomic_umin_x2 v2, v[0:1], s[2:3]
.LBB17_33:
	s_endpgm
	.section	.rodata,"a",@progbits
	.p2align	6, 0x0
	.amdhsa_kernel _ZN9rocsparseL27csrsv_analysis_lower_kernelILj1024ELj64ELb0EllEEvT3_PKT2_PKS1_PS2_PiS7_PS1_21rocsparse_index_base_20rocsparse_diag_type_
		.amdhsa_group_segment_fixed_size 64
		.amdhsa_private_segment_fixed_size 0
		.amdhsa_kernarg_size 64
		.amdhsa_user_sgpr_count 6
		.amdhsa_user_sgpr_private_segment_buffer 1
		.amdhsa_user_sgpr_dispatch_ptr 0
		.amdhsa_user_sgpr_queue_ptr 0
		.amdhsa_user_sgpr_kernarg_segment_ptr 1
		.amdhsa_user_sgpr_dispatch_id 0
		.amdhsa_user_sgpr_flat_scratch_init 0
		.amdhsa_user_sgpr_private_segment_size 0
		.amdhsa_uses_dynamic_stack 0
		.amdhsa_system_sgpr_private_segment_wavefront_offset 0
		.amdhsa_system_sgpr_workgroup_id_x 1
		.amdhsa_system_sgpr_workgroup_id_y 0
		.amdhsa_system_sgpr_workgroup_id_z 0
		.amdhsa_system_sgpr_workgroup_info 0
		.amdhsa_system_vgpr_workitem_id 0
		.amdhsa_next_free_vgpr 19
		.amdhsa_next_free_sgpr 30
		.amdhsa_reserve_vcc 1
		.amdhsa_reserve_flat_scratch 0
		.amdhsa_float_round_mode_32 0
		.amdhsa_float_round_mode_16_64 0
		.amdhsa_float_denorm_mode_32 3
		.amdhsa_float_denorm_mode_16_64 3
		.amdhsa_dx10_clamp 1
		.amdhsa_ieee_mode 1
		.amdhsa_fp16_overflow 0
		.amdhsa_exception_fp_ieee_invalid_op 0
		.amdhsa_exception_fp_denorm_src 0
		.amdhsa_exception_fp_ieee_div_zero 0
		.amdhsa_exception_fp_ieee_overflow 0
		.amdhsa_exception_fp_ieee_underflow 0
		.amdhsa_exception_fp_ieee_inexact 0
		.amdhsa_exception_int_div_zero 0
	.end_amdhsa_kernel
	.section	.text._ZN9rocsparseL27csrsv_analysis_lower_kernelILj1024ELj64ELb0EllEEvT3_PKT2_PKS1_PS2_PiS7_PS1_21rocsparse_index_base_20rocsparse_diag_type_,"axG",@progbits,_ZN9rocsparseL27csrsv_analysis_lower_kernelILj1024ELj64ELb0EllEEvT3_PKT2_PKS1_PS2_PiS7_PS1_21rocsparse_index_base_20rocsparse_diag_type_,comdat
.Lfunc_end17:
	.size	_ZN9rocsparseL27csrsv_analysis_lower_kernelILj1024ELj64ELb0EllEEvT3_PKT2_PKS1_PS2_PiS7_PS1_21rocsparse_index_base_20rocsparse_diag_type_, .Lfunc_end17-_ZN9rocsparseL27csrsv_analysis_lower_kernelILj1024ELj64ELb0EllEEvT3_PKT2_PKS1_PS2_PiS7_PS1_21rocsparse_index_base_20rocsparse_diag_type_
                                        ; -- End function
	.set _ZN9rocsparseL27csrsv_analysis_lower_kernelILj1024ELj64ELb0EllEEvT3_PKT2_PKS1_PS2_PiS7_PS1_21rocsparse_index_base_20rocsparse_diag_type_.num_vgpr, 19
	.set _ZN9rocsparseL27csrsv_analysis_lower_kernelILj1024ELj64ELb0EllEEvT3_PKT2_PKS1_PS2_PiS7_PS1_21rocsparse_index_base_20rocsparse_diag_type_.num_agpr, 0
	.set _ZN9rocsparseL27csrsv_analysis_lower_kernelILj1024ELj64ELb0EllEEvT3_PKT2_PKS1_PS2_PiS7_PS1_21rocsparse_index_base_20rocsparse_diag_type_.numbered_sgpr, 30
	.set _ZN9rocsparseL27csrsv_analysis_lower_kernelILj1024ELj64ELb0EllEEvT3_PKT2_PKS1_PS2_PiS7_PS1_21rocsparse_index_base_20rocsparse_diag_type_.num_named_barrier, 0
	.set _ZN9rocsparseL27csrsv_analysis_lower_kernelILj1024ELj64ELb0EllEEvT3_PKT2_PKS1_PS2_PiS7_PS1_21rocsparse_index_base_20rocsparse_diag_type_.private_seg_size, 0
	.set _ZN9rocsparseL27csrsv_analysis_lower_kernelILj1024ELj64ELb0EllEEvT3_PKT2_PKS1_PS2_PiS7_PS1_21rocsparse_index_base_20rocsparse_diag_type_.uses_vcc, 1
	.set _ZN9rocsparseL27csrsv_analysis_lower_kernelILj1024ELj64ELb0EllEEvT3_PKT2_PKS1_PS2_PiS7_PS1_21rocsparse_index_base_20rocsparse_diag_type_.uses_flat_scratch, 0
	.set _ZN9rocsparseL27csrsv_analysis_lower_kernelILj1024ELj64ELb0EllEEvT3_PKT2_PKS1_PS2_PiS7_PS1_21rocsparse_index_base_20rocsparse_diag_type_.has_dyn_sized_stack, 0
	.set _ZN9rocsparseL27csrsv_analysis_lower_kernelILj1024ELj64ELb0EllEEvT3_PKT2_PKS1_PS2_PiS7_PS1_21rocsparse_index_base_20rocsparse_diag_type_.has_recursion, 0
	.set _ZN9rocsparseL27csrsv_analysis_lower_kernelILj1024ELj64ELb0EllEEvT3_PKT2_PKS1_PS2_PiS7_PS1_21rocsparse_index_base_20rocsparse_diag_type_.has_indirect_call, 0
	.section	.AMDGPU.csdata,"",@progbits
; Kernel info:
; codeLenInByte = 1088
; TotalNumSgprs: 34
; NumVgprs: 19
; ScratchSize: 0
; MemoryBound: 0
; FloatMode: 240
; IeeeMode: 1
; LDSByteSize: 64 bytes/workgroup (compile time only)
; SGPRBlocks: 4
; VGPRBlocks: 4
; NumSGPRsForWavesPerEU: 34
; NumVGPRsForWavesPerEU: 19
; Occupancy: 10
; WaveLimiterHint : 1
; COMPUTE_PGM_RSRC2:SCRATCH_EN: 0
; COMPUTE_PGM_RSRC2:USER_SGPR: 6
; COMPUTE_PGM_RSRC2:TRAP_HANDLER: 0
; COMPUTE_PGM_RSRC2:TGID_X_EN: 1
; COMPUTE_PGM_RSRC2:TGID_Y_EN: 0
; COMPUTE_PGM_RSRC2:TGID_Z_EN: 0
; COMPUTE_PGM_RSRC2:TIDIG_COMP_CNT: 0
	.section	.text._ZN9rocsparseL27csrsv_analysis_upper_kernelILj1024ELj64ELb1EilEEvT3_PKT2_PKS1_PS2_PiS7_PS1_21rocsparse_index_base_20rocsparse_diag_type_,"axG",@progbits,_ZN9rocsparseL27csrsv_analysis_upper_kernelILj1024ELj64ELb1EilEEvT3_PKT2_PKS1_PS2_PiS7_PS1_21rocsparse_index_base_20rocsparse_diag_type_,comdat
	.globl	_ZN9rocsparseL27csrsv_analysis_upper_kernelILj1024ELj64ELb1EilEEvT3_PKT2_PKS1_PS2_PiS7_PS1_21rocsparse_index_base_20rocsparse_diag_type_ ; -- Begin function _ZN9rocsparseL27csrsv_analysis_upper_kernelILj1024ELj64ELb1EilEEvT3_PKT2_PKS1_PS2_PiS7_PS1_21rocsparse_index_base_20rocsparse_diag_type_
	.p2align	8
	.type	_ZN9rocsparseL27csrsv_analysis_upper_kernelILj1024ELj64ELb1EilEEvT3_PKT2_PKS1_PS2_PiS7_PS1_21rocsparse_index_base_20rocsparse_diag_type_,@function
_ZN9rocsparseL27csrsv_analysis_upper_kernelILj1024ELj64ELb1EilEEvT3_PKT2_PKS1_PS2_PiS7_PS1_21rocsparse_index_base_20rocsparse_diag_type_: ; @_ZN9rocsparseL27csrsv_analysis_upper_kernelILj1024ELj64ELb1EilEEvT3_PKT2_PKS1_PS2_PiS7_PS1_21rocsparse_index_base_20rocsparse_diag_type_
; %bb.0:
	s_load_dwordx2 s[12:13], s[4:5], 0x0
	s_lshl_b32 s16, s6, 4
	s_mov_b32 s17, 0
	s_not_b64 s[0:1], s[16:17]
	v_lshrrev_b32_e32 v3, 6, v0
	s_waitcnt lgkmcnt(0)
	s_add_u32 s18, s12, s0
	s_addc_u32 s19, s13, s1
	v_mov_b32_e32 v2, s19
	v_sub_co_u32_e32 v1, vcc, s18, v3
	v_subbrev_co_u32_e32 v2, vcc, 0, v2, vcc
	v_cmp_lt_i64_e32 vcc, -1, v[1:2]
	v_mov_b32_e32 v4, 0
	v_lshlrev_b32_e32 v10, 2, v3
	ds_write_b32 v10, v4
	s_waitcnt lgkmcnt(0)
	s_barrier
	s_and_saveexec_b64 s[0:1], vcc
	s_cbranch_execz .LBB18_37
; %bb.1:
	s_load_dwordx2 s[0:1], s[4:5], 0x8
	s_load_dwordx4 s[8:11], s[4:5], 0x18
	v_and_b32_e32 v0, 63, v0
	v_lshlrev_b64 v[3:4], 2, v[1:2]
	v_cmp_eq_u32_e32 vcc, 0, v0
	s_and_saveexec_b64 s[2:3], vcc
	s_cbranch_execz .LBB18_3
; %bb.2:
	s_waitcnt lgkmcnt(0)
	v_mov_b32_e32 v6, s9
	v_add_co_u32_e32 v5, vcc, s8, v3
	v_addc_co_u32_e32 v6, vcc, v6, v4, vcc
	v_mov_b32_e32 v7, -1
	global_store_dword v[5:6], v7, off
.LBB18_3:
	s_or_b64 exec, exec, s[2:3]
	s_waitcnt lgkmcnt(0)
	v_mov_b32_e32 v6, s1
	v_add_co_u32_e32 v5, vcc, s0, v3
	v_addc_co_u32_e32 v6, vcc, v6, v4, vcc
	global_load_dwordx2 v[5:6], v[5:6], off
	s_load_dwordx2 s[6:7], s[4:5], 0x38
	s_load_dwordx4 s[0:3], s[4:5], 0x28
	v_mov_b32_e32 v8, 0
	s_waitcnt vmcnt(0) lgkmcnt(0)
	v_subrev_u32_e32 v12, s6, v6
	v_subrev_u32_e32 v11, s6, v5
	v_xad_u32 v9, v0, -1, v12
	v_cmp_ge_i32_e32 vcc, v9, v11
	s_and_saveexec_b64 s[14:15], vcc
	s_cbranch_execz .LBB18_27
; %bb.4:
	s_load_dwordx2 s[4:5], s[4:5], 0x10
	v_mov_b32_e32 v8, 0
	s_mov_b64 s[20:21], 0
                                        ; implicit-def: $sgpr22_sgpr23
                                        ; implicit-def: $sgpr26_sgpr27
                                        ; implicit-def: $sgpr24_sgpr25
	s_waitcnt lgkmcnt(0)
	v_mov_b32_e32 v14, s5
	s_branch .LBB18_8
.LBB18_5:                               ;   in Loop: Header=BB18_8 Depth=1
	s_or_b64 exec, exec, s[34:35]
.LBB18_6:                               ;   in Loop: Header=BB18_8 Depth=1
	s_or_b64 exec, exec, s[30:31]
	v_subrev_u32_e32 v9, 64, v5
	v_cmp_lt_i32_e32 vcc, v9, v11
	s_andn2_b64 s[26:27], s[26:27], exec
	s_and_b64 s[30:31], vcc, exec
	v_max_i32_e32 v8, v15, v13
	s_andn2_b64 s[24:25], s[24:25], exec
	s_or_b64 s[26:27], s[26:27], s[30:31]
.LBB18_7:                               ;   in Loop: Header=BB18_8 Depth=1
	s_or_b64 exec, exec, s[28:29]
	s_and_b64 s[28:29], exec, s[26:27]
	s_or_b64 s[20:21], s[28:29], s[20:21]
	s_andn2_b64 s[22:23], s[22:23], exec
	s_and_b64 s[28:29], s[24:25], exec
	s_or_b64 s[22:23], s[22:23], s[28:29]
	s_andn2_b64 exec, exec, s[20:21]
	s_cbranch_execz .LBB18_14
.LBB18_8:                               ; =>This Loop Header: Depth=1
                                        ;     Child Loop BB18_12 Depth 2
                                        ;       Child Loop BB18_13 Depth 3
	v_mov_b32_e32 v5, v9
	v_ashrrev_i32_e32 v6, 31, v5
	v_lshlrev_b64 v[6:7], 3, v[5:6]
	v_mov_b32_e32 v13, v8
	v_add_co_u32_e32 v6, vcc, s4, v6
	v_addc_co_u32_e32 v7, vcc, v14, v7, vcc
	global_load_dwordx2 v[6:7], v[6:7], off glc slc
	s_or_b64 s[24:25], s[24:25], exec
	s_or_b64 s[26:27], s[26:27], exec
                                        ; implicit-def: $vgpr9
                                        ; implicit-def: $vgpr8
	s_waitcnt vmcnt(0)
	v_subrev_co_u32_e32 v6, vcc, s6, v6
	v_subbrev_co_u32_e32 v7, vcc, 0, v7, vcc
	v_cmp_lt_i64_e32 vcc, s[18:19], v[6:7]
	s_and_saveexec_b64 s[28:29], vcc
	s_cbranch_execz .LBB18_7
; %bb.9:                                ;   in Loop: Header=BB18_8 Depth=1
	v_lshlrev_b64 v[8:9], 2, v[6:7]
	v_mov_b32_e32 v15, s11
	v_add_co_u32_e32 v8, vcc, s10, v8
	v_addc_co_u32_e32 v9, vcc, v15, v9, vcc
	global_load_dword v15, v[8:9], off glc
	s_waitcnt vmcnt(0)
	v_cmp_eq_u32_e32 vcc, 0, v15
	s_and_saveexec_b64 s[30:31], vcc
	s_cbranch_execz .LBB18_6
; %bb.10:                               ;   in Loop: Header=BB18_8 Depth=1
	s_mov_b32 s5, 0
	s_mov_b64 s[34:35], 0
	s_branch .LBB18_12
.LBB18_11:                              ;   in Loop: Header=BB18_12 Depth=2
	global_load_dword v15, v[8:9], off glc
	s_cmpk_lt_u32 s5, 0xf43
	s_cselect_b64 s[36:37], -1, 0
	s_cmp_lg_u64 s[36:37], 0
	s_addc_u32 s5, s5, 0
	s_waitcnt vmcnt(0)
	v_cmp_ne_u32_e32 vcc, 0, v15
	s_or_b64 s[34:35], vcc, s[34:35]
	s_andn2_b64 exec, exec, s[34:35]
	s_cbranch_execz .LBB18_5
.LBB18_12:                              ;   Parent Loop BB18_8 Depth=1
                                        ; =>  This Loop Header: Depth=2
                                        ;       Child Loop BB18_13 Depth 3
	s_cmp_eq_u32 s5, 0
	s_mov_b32 s13, s5
	s_cbranch_scc1 .LBB18_11
.LBB18_13:                              ;   Parent Loop BB18_8 Depth=1
                                        ;     Parent Loop BB18_12 Depth=2
                                        ; =>    This Inner Loop Header: Depth=3
	s_add_i32 s13, s13, -1
	s_cmp_eq_u32 s13, 0
	s_sleep 1
	s_cbranch_scc0 .LBB18_13
	s_branch .LBB18_11
.LBB18_14:
	s_or_b64 exec, exec, s[20:21]
	s_and_saveexec_b64 s[4:5], s[22:23]
	s_xor_b64 s[4:5], exec, s[4:5]
	s_cbranch_execz .LBB18_26
; %bb.15:
	v_cmp_eq_u64_e32 vcc, v[6:7], v[1:2]
	s_and_saveexec_b64 s[18:19], vcc
	s_cbranch_execz .LBB18_17
; %bb.16:
	v_mov_b32_e32 v9, s9
	v_add_co_u32_e32 v8, vcc, s8, v3
	v_addc_co_u32_e32 v9, vcc, v9, v4, vcc
	global_store_dword v[8:9], v5, off
.LBB18_17:
	s_or_b64 exec, exec, s[18:19]
	v_cmp_gt_i64_e32 vcc, v[6:7], v[1:2]
	s_and_saveexec_b64 s[18:19], vcc
	s_cbranch_execz .LBB18_25
; %bb.18:
	s_xor_b32 s13, s16, 0x3ffffff0
	s_add_i32 s12, s12, s13
	v_sub_u32_e32 v5, s12, v6
	v_lshlrev_b32_e32 v5, 2, v5
	ds_read_b32 v6, v5 offset:60
	s_mov_b32 s20, 0
	s_waitcnt lgkmcnt(0)
	v_cmp_eq_u32_e32 vcc, 0, v6
	s_and_saveexec_b64 s[12:13], vcc
	s_cbranch_execz .LBB18_24
; %bb.19:
	s_mov_b64 s[16:17], 0
	s_branch .LBB18_21
.LBB18_20:                              ;   in Loop: Header=BB18_21 Depth=1
	ds_read_b32 v6, v5 offset:60
	s_cmpk_lt_u32 s20, 0xf43
	s_cselect_b64 s[22:23], -1, 0
	s_cmp_lg_u64 s[22:23], 0
	s_addc_u32 s20, s20, 0
	s_waitcnt lgkmcnt(0)
	v_cmp_ne_u32_e32 vcc, 0, v6
	s_or_b64 s[16:17], vcc, s[16:17]
	s_andn2_b64 exec, exec, s[16:17]
	s_cbranch_execz .LBB18_23
.LBB18_21:                              ; =>This Loop Header: Depth=1
                                        ;     Child Loop BB18_22 Depth 2
	s_cmp_eq_u32 s20, 0
	s_mov_b32 s21, s20
	s_cbranch_scc1 .LBB18_20
.LBB18_22:                              ;   Parent Loop BB18_21 Depth=1
                                        ; =>  This Inner Loop Header: Depth=2
	s_add_i32 s21, s21, -1
	s_cmp_eq_u32 s21, 0
	s_sleep 1
	s_cbranch_scc0 .LBB18_22
	s_branch .LBB18_20
.LBB18_23:
	s_or_b64 exec, exec, s[16:17]
.LBB18_24:
	s_or_b64 exec, exec, s[12:13]
	v_max_i32_e32 v13, v6, v13
.LBB18_25:
	s_or_b64 exec, exec, s[18:19]
	v_mov_b32_e32 v8, v13
.LBB18_26:
	s_or_b64 exec, exec, s[4:5]
.LBB18_27:
	s_or_b64 exec, exec, s[14:15]
	v_mov_b32_dpp v5, v8 row_shr:1 row_mask:0xf bank_mask:0xf
	v_max_i32_e32 v5, v8, v5
	v_cmp_eq_u32_e32 vcc, 63, v0
	s_nop 0
	v_mov_b32_dpp v6, v5 row_shr:2 row_mask:0xf bank_mask:0xf
	v_max_i32_e32 v5, v5, v6
	s_nop 1
	v_mov_b32_dpp v6, v5 row_shr:4 row_mask:0xf bank_mask:0xe
	v_max_i32_e32 v5, v5, v6
	;; [unrolled: 3-line block ×3, first 2 shown]
	s_nop 1
	v_mov_b32_dpp v6, v5 row_bcast:15 row_mask:0xa bank_mask:0xf
	v_max_i32_e32 v5, v5, v6
	s_nop 1
	v_mov_b32_dpp v6, v5 row_bcast:31 row_mask:0xc bank_mask:0xf
	s_and_b64 exec, exec, vcc
	s_cbranch_execz .LBB18_37
; %bb.28:
	v_max_i32_e32 v0, v5, v6
	v_mov_b32_e32 v6, s11
	v_add_co_u32_e32 v5, vcc, s10, v3
	v_add_u32_e32 v0, 1, v0
	v_addc_co_u32_e32 v6, vcc, v6, v4, vcc
	s_mov_b64 s[4:5], exec
	ds_write_b32 v10, v0
	global_store_dword v[5:6], v0, off
	v_sub_u32_e32 v0, v12, v11
	s_brev_b32 s10, 1
.LBB18_29:                              ; =>This Inner Loop Header: Depth=1
	s_ff1_i32_b64 s11, s[4:5]
	v_readlane_b32 s14, v0, s11
	s_lshl_b64 s[12:13], 1, s11
	s_max_i32 s10, s10, s14
	s_andn2_b64 s[4:5], s[4:5], s[12:13]
	s_cmp_lg_u64 s[4:5], 0
	s_cbranch_scc1 .LBB18_29
; %bb.30:
	v_mbcnt_lo_u32_b32 v0, exec_lo, 0
	v_mbcnt_hi_u32_b32 v0, exec_hi, v0
	v_cmp_eq_u32_e32 vcc, 0, v0
	s_and_saveexec_b64 s[4:5], vcc
	s_xor_b64 s[4:5], exec, s[4:5]
	s_cbranch_execz .LBB18_32
; %bb.31:
	v_mov_b32_e32 v0, 0
	v_mov_b32_e32 v5, s10
	global_atomic_smax v0, v5, s[0:1]
.LBB18_32:
	s_or_b64 exec, exec, s[4:5]
	v_mov_b32_e32 v0, s9
	v_add_co_u32_e32 v3, vcc, s8, v3
	v_addc_co_u32_e32 v4, vcc, v0, v4, vcc
	global_load_dword v0, v[3:4], off
	s_cmp_eq_u32 s7, 0
	s_cselect_b64 s[0:1], -1, 0
	s_waitcnt vmcnt(0)
	v_cmp_eq_u32_e32 vcc, -1, v0
	s_and_b64 s[0:1], s[0:1], vcc
	s_and_b64 exec, exec, s[0:1]
	s_cbranch_execz .LBB18_37
; %bb.33:
	v_add_co_u32_e32 v0, vcc, s6, v1
	s_mov_b64 s[4:5], exec
	v_addc_co_u32_e32 v1, vcc, 0, v2, vcc
	s_mov_b64 s[0:1], -1
.LBB18_34:                              ; =>This Inner Loop Header: Depth=1
	s_ff1_i32_b64 s8, s[4:5]
	v_readlane_b32 s9, v1, s8
	v_readlane_b32 s10, v0, s8
	v_mov_b32_e32 v2, s10
	v_mov_b32_e32 v3, s9
	v_cmp_lt_u64_e32 vcc, s[0:1], v[2:3]
	s_and_b64 s[6:7], vcc, exec
	s_cselect_b32 s1, s1, s9
	s_cselect_b32 s0, s0, s10
	s_lshl_b64 s[6:7], 1, s8
	s_andn2_b64 s[4:5], s[4:5], s[6:7]
	s_cmp_lg_u64 s[4:5], 0
	s_cbranch_scc1 .LBB18_34
; %bb.35:
	v_mbcnt_lo_u32_b32 v0, exec_lo, 0
	v_mbcnt_hi_u32_b32 v0, exec_hi, v0
	v_cmp_eq_u32_e32 vcc, 0, v0
	s_and_saveexec_b64 s[4:5], vcc
	s_xor_b64 s[4:5], exec, s[4:5]
	s_cbranch_execz .LBB18_37
; %bb.36:
	v_mov_b32_e32 v0, s0
	v_mov_b32_e32 v2, 0
	;; [unrolled: 1-line block ×3, first 2 shown]
	global_atomic_umin_x2 v2, v[0:1], s[2:3]
.LBB18_37:
	s_endpgm
	.section	.rodata,"a",@progbits
	.p2align	6, 0x0
	.amdhsa_kernel _ZN9rocsparseL27csrsv_analysis_upper_kernelILj1024ELj64ELb1EilEEvT3_PKT2_PKS1_PS2_PiS7_PS1_21rocsparse_index_base_20rocsparse_diag_type_
		.amdhsa_group_segment_fixed_size 64
		.amdhsa_private_segment_fixed_size 0
		.amdhsa_kernarg_size 64
		.amdhsa_user_sgpr_count 6
		.amdhsa_user_sgpr_private_segment_buffer 1
		.amdhsa_user_sgpr_dispatch_ptr 0
		.amdhsa_user_sgpr_queue_ptr 0
		.amdhsa_user_sgpr_kernarg_segment_ptr 1
		.amdhsa_user_sgpr_dispatch_id 0
		.amdhsa_user_sgpr_flat_scratch_init 0
		.amdhsa_user_sgpr_private_segment_size 0
		.amdhsa_uses_dynamic_stack 0
		.amdhsa_system_sgpr_private_segment_wavefront_offset 0
		.amdhsa_system_sgpr_workgroup_id_x 1
		.amdhsa_system_sgpr_workgroup_id_y 0
		.amdhsa_system_sgpr_workgroup_id_z 0
		.amdhsa_system_sgpr_workgroup_info 0
		.amdhsa_system_vgpr_workitem_id 0
		.amdhsa_next_free_vgpr 16
		.amdhsa_next_free_sgpr 38
		.amdhsa_reserve_vcc 1
		.amdhsa_reserve_flat_scratch 0
		.amdhsa_float_round_mode_32 0
		.amdhsa_float_round_mode_16_64 0
		.amdhsa_float_denorm_mode_32 3
		.amdhsa_float_denorm_mode_16_64 3
		.amdhsa_dx10_clamp 1
		.amdhsa_ieee_mode 1
		.amdhsa_fp16_overflow 0
		.amdhsa_exception_fp_ieee_invalid_op 0
		.amdhsa_exception_fp_denorm_src 0
		.amdhsa_exception_fp_ieee_div_zero 0
		.amdhsa_exception_fp_ieee_overflow 0
		.amdhsa_exception_fp_ieee_underflow 0
		.amdhsa_exception_fp_ieee_inexact 0
		.amdhsa_exception_int_div_zero 0
	.end_amdhsa_kernel
	.section	.text._ZN9rocsparseL27csrsv_analysis_upper_kernelILj1024ELj64ELb1EilEEvT3_PKT2_PKS1_PS2_PiS7_PS1_21rocsparse_index_base_20rocsparse_diag_type_,"axG",@progbits,_ZN9rocsparseL27csrsv_analysis_upper_kernelILj1024ELj64ELb1EilEEvT3_PKT2_PKS1_PS2_PiS7_PS1_21rocsparse_index_base_20rocsparse_diag_type_,comdat
.Lfunc_end18:
	.size	_ZN9rocsparseL27csrsv_analysis_upper_kernelILj1024ELj64ELb1EilEEvT3_PKT2_PKS1_PS2_PiS7_PS1_21rocsparse_index_base_20rocsparse_diag_type_, .Lfunc_end18-_ZN9rocsparseL27csrsv_analysis_upper_kernelILj1024ELj64ELb1EilEEvT3_PKT2_PKS1_PS2_PiS7_PS1_21rocsparse_index_base_20rocsparse_diag_type_
                                        ; -- End function
	.set _ZN9rocsparseL27csrsv_analysis_upper_kernelILj1024ELj64ELb1EilEEvT3_PKT2_PKS1_PS2_PiS7_PS1_21rocsparse_index_base_20rocsparse_diag_type_.num_vgpr, 16
	.set _ZN9rocsparseL27csrsv_analysis_upper_kernelILj1024ELj64ELb1EilEEvT3_PKT2_PKS1_PS2_PiS7_PS1_21rocsparse_index_base_20rocsparse_diag_type_.num_agpr, 0
	.set _ZN9rocsparseL27csrsv_analysis_upper_kernelILj1024ELj64ELb1EilEEvT3_PKT2_PKS1_PS2_PiS7_PS1_21rocsparse_index_base_20rocsparse_diag_type_.numbered_sgpr, 38
	.set _ZN9rocsparseL27csrsv_analysis_upper_kernelILj1024ELj64ELb1EilEEvT3_PKT2_PKS1_PS2_PiS7_PS1_21rocsparse_index_base_20rocsparse_diag_type_.num_named_barrier, 0
	.set _ZN9rocsparseL27csrsv_analysis_upper_kernelILj1024ELj64ELb1EilEEvT3_PKT2_PKS1_PS2_PiS7_PS1_21rocsparse_index_base_20rocsparse_diag_type_.private_seg_size, 0
	.set _ZN9rocsparseL27csrsv_analysis_upper_kernelILj1024ELj64ELb1EilEEvT3_PKT2_PKS1_PS2_PiS7_PS1_21rocsparse_index_base_20rocsparse_diag_type_.uses_vcc, 1
	.set _ZN9rocsparseL27csrsv_analysis_upper_kernelILj1024ELj64ELb1EilEEvT3_PKT2_PKS1_PS2_PiS7_PS1_21rocsparse_index_base_20rocsparse_diag_type_.uses_flat_scratch, 0
	.set _ZN9rocsparseL27csrsv_analysis_upper_kernelILj1024ELj64ELb1EilEEvT3_PKT2_PKS1_PS2_PiS7_PS1_21rocsparse_index_base_20rocsparse_diag_type_.has_dyn_sized_stack, 0
	.set _ZN9rocsparseL27csrsv_analysis_upper_kernelILj1024ELj64ELb1EilEEvT3_PKT2_PKS1_PS2_PiS7_PS1_21rocsparse_index_base_20rocsparse_diag_type_.has_recursion, 0
	.set _ZN9rocsparseL27csrsv_analysis_upper_kernelILj1024ELj64ELb1EilEEvT3_PKT2_PKS1_PS2_PiS7_PS1_21rocsparse_index_base_20rocsparse_diag_type_.has_indirect_call, 0
	.section	.AMDGPU.csdata,"",@progbits
; Kernel info:
; codeLenInByte = 1164
; TotalNumSgprs: 42
; NumVgprs: 16
; ScratchSize: 0
; MemoryBound: 0
; FloatMode: 240
; IeeeMode: 1
; LDSByteSize: 64 bytes/workgroup (compile time only)
; SGPRBlocks: 5
; VGPRBlocks: 3
; NumSGPRsForWavesPerEU: 42
; NumVGPRsForWavesPerEU: 16
; Occupancy: 10
; WaveLimiterHint : 1
; COMPUTE_PGM_RSRC2:SCRATCH_EN: 0
; COMPUTE_PGM_RSRC2:USER_SGPR: 6
; COMPUTE_PGM_RSRC2:TRAP_HANDLER: 0
; COMPUTE_PGM_RSRC2:TGID_X_EN: 1
; COMPUTE_PGM_RSRC2:TGID_Y_EN: 0
; COMPUTE_PGM_RSRC2:TGID_Z_EN: 0
; COMPUTE_PGM_RSRC2:TIDIG_COMP_CNT: 0
	.section	.text._ZN9rocsparseL27csrsv_analysis_lower_kernelILj1024ELj64ELb1EilEEvT3_PKT2_PKS1_PS2_PiS7_PS1_21rocsparse_index_base_20rocsparse_diag_type_,"axG",@progbits,_ZN9rocsparseL27csrsv_analysis_lower_kernelILj1024ELj64ELb1EilEEvT3_PKT2_PKS1_PS2_PiS7_PS1_21rocsparse_index_base_20rocsparse_diag_type_,comdat
	.globl	_ZN9rocsparseL27csrsv_analysis_lower_kernelILj1024ELj64ELb1EilEEvT3_PKT2_PKS1_PS2_PiS7_PS1_21rocsparse_index_base_20rocsparse_diag_type_ ; -- Begin function _ZN9rocsparseL27csrsv_analysis_lower_kernelILj1024ELj64ELb1EilEEvT3_PKT2_PKS1_PS2_PiS7_PS1_21rocsparse_index_base_20rocsparse_diag_type_
	.p2align	8
	.type	_ZN9rocsparseL27csrsv_analysis_lower_kernelILj1024ELj64ELb1EilEEvT3_PKT2_PKS1_PS2_PiS7_PS1_21rocsparse_index_base_20rocsparse_diag_type_,@function
_ZN9rocsparseL27csrsv_analysis_lower_kernelILj1024ELj64ELb1EilEEvT3_PKT2_PKS1_PS2_PiS7_PS1_21rocsparse_index_base_20rocsparse_diag_type_: ; @_ZN9rocsparseL27csrsv_analysis_lower_kernelILj1024ELj64ELb1EilEEvT3_PKT2_PKS1_PS2_PiS7_PS1_21rocsparse_index_base_20rocsparse_diag_type_
; %bb.0:
	s_load_dwordx2 s[0:1], s[4:5], 0x0
	v_lshrrev_b32_e32 v3, 6, v0
	s_lshl_b32 s14, s6, 4
	v_or_b32_e32 v1, s14, v3
	v_mov_b32_e32 v2, 0
	s_waitcnt lgkmcnt(0)
	v_cmp_gt_i64_e32 vcc, s[0:1], v[1:2]
	v_lshlrev_b32_e32 v10, 2, v3
	ds_write_b32 v10, v2
	s_waitcnt lgkmcnt(0)
	s_barrier
	s_and_saveexec_b64 s[0:1], vcc
	s_cbranch_execz .LBB19_37
; %bb.1:
	s_load_dwordx2 s[0:1], s[4:5], 0x8
	s_load_dwordx4 s[8:11], s[4:5], 0x18
	v_and_b32_e32 v0, 63, v0
	v_lshlrev_b64 v[3:4], 2, v[1:2]
	v_cmp_eq_u32_e32 vcc, 0, v0
	s_and_saveexec_b64 s[2:3], vcc
	s_cbranch_execz .LBB19_3
; %bb.2:
	s_waitcnt lgkmcnt(0)
	v_mov_b32_e32 v6, s9
	v_add_co_u32_e32 v5, vcc, s8, v3
	v_addc_co_u32_e32 v6, vcc, v6, v4, vcc
	v_mov_b32_e32 v7, -1
	global_store_dword v[5:6], v7, off
.LBB19_3:
	s_or_b64 exec, exec, s[2:3]
	s_waitcnt lgkmcnt(0)
	v_mov_b32_e32 v6, s1
	v_add_co_u32_e32 v5, vcc, s0, v3
	v_addc_co_u32_e32 v6, vcc, v6, v4, vcc
	global_load_dwordx2 v[5:6], v[5:6], off
	s_load_dwordx2 s[6:7], s[4:5], 0x38
	s_load_dwordx4 s[0:3], s[4:5], 0x28
	v_mov_b32_e32 v8, 0
	s_waitcnt vmcnt(0) lgkmcnt(0)
	v_subrev_u32_e32 v11, s6, v5
	v_subrev_u32_e32 v12, s6, v6
	v_add_u32_e32 v9, v11, v0
	v_cmp_lt_i32_e32 vcc, v9, v12
	s_and_saveexec_b64 s[12:13], vcc
	s_cbranch_execz .LBB19_27
; %bb.4:
	s_load_dwordx2 s[4:5], s[4:5], 0x10
	s_mov_b32 s15, 0
	v_mov_b32_e32 v8, 0
	s_mov_b64 s[16:17], 0
                                        ; implicit-def: $sgpr18_sgpr19
                                        ; implicit-def: $sgpr22_sgpr23
                                        ; implicit-def: $sgpr20_sgpr21
	s_waitcnt lgkmcnt(0)
	v_mov_b32_e32 v14, s5
	s_branch .LBB19_8
.LBB19_5:                               ;   in Loop: Header=BB19_8 Depth=1
	s_or_b64 exec, exec, s[28:29]
.LBB19_6:                               ;   in Loop: Header=BB19_8 Depth=1
	s_or_b64 exec, exec, s[26:27]
	v_add_u32_e32 v9, 64, v5
	v_cmp_ge_i32_e32 vcc, v9, v12
	s_andn2_b64 s[22:23], s[22:23], exec
	s_and_b64 s[26:27], vcc, exec
	v_max_i32_e32 v8, v15, v13
	s_andn2_b64 s[20:21], s[20:21], exec
	s_or_b64 s[22:23], s[22:23], s[26:27]
.LBB19_7:                               ;   in Loop: Header=BB19_8 Depth=1
	s_or_b64 exec, exec, s[24:25]
	s_and_b64 s[24:25], exec, s[22:23]
	s_or_b64 s[16:17], s[24:25], s[16:17]
	s_andn2_b64 s[18:19], s[18:19], exec
	s_and_b64 s[24:25], s[20:21], exec
	s_or_b64 s[18:19], s[18:19], s[24:25]
	s_andn2_b64 exec, exec, s[16:17]
	s_cbranch_execz .LBB19_14
.LBB19_8:                               ; =>This Loop Header: Depth=1
                                        ;     Child Loop BB19_12 Depth 2
                                        ;       Child Loop BB19_13 Depth 3
	v_mov_b32_e32 v5, v9
	v_ashrrev_i32_e32 v6, 31, v5
	v_lshlrev_b64 v[6:7], 3, v[5:6]
	v_mov_b32_e32 v13, v8
	v_add_co_u32_e32 v6, vcc, s4, v6
	v_addc_co_u32_e32 v7, vcc, v14, v7, vcc
	global_load_dwordx2 v[6:7], v[6:7], off glc slc
	s_or_b64 s[20:21], s[20:21], exec
	s_or_b64 s[22:23], s[22:23], exec
                                        ; implicit-def: $vgpr9
                                        ; implicit-def: $vgpr8
	s_waitcnt vmcnt(0)
	v_subrev_co_u32_e32 v6, vcc, s6, v6
	v_subbrev_co_u32_e32 v7, vcc, 0, v7, vcc
	v_cmp_gt_i64_e32 vcc, s[14:15], v[6:7]
	s_and_saveexec_b64 s[24:25], vcc
	s_cbranch_execz .LBB19_7
; %bb.9:                                ;   in Loop: Header=BB19_8 Depth=1
	v_lshlrev_b64 v[8:9], 2, v[6:7]
	v_mov_b32_e32 v15, s11
	v_add_co_u32_e32 v8, vcc, s10, v8
	v_addc_co_u32_e32 v9, vcc, v15, v9, vcc
	global_load_dword v15, v[8:9], off glc
	s_waitcnt vmcnt(0)
	v_cmp_eq_u32_e32 vcc, 0, v15
	s_and_saveexec_b64 s[26:27], vcc
	s_cbranch_execz .LBB19_6
; %bb.10:                               ;   in Loop: Header=BB19_8 Depth=1
	s_mov_b32 s5, 0
	s_mov_b64 s[28:29], 0
	s_branch .LBB19_12
.LBB19_11:                              ;   in Loop: Header=BB19_12 Depth=2
	global_load_dword v15, v[8:9], off glc
	s_cmpk_lt_u32 s5, 0xf43
	s_cselect_b64 s[30:31], -1, 0
	s_cmp_lg_u64 s[30:31], 0
	s_addc_u32 s5, s5, 0
	s_waitcnt vmcnt(0)
	v_cmp_ne_u32_e32 vcc, 0, v15
	s_or_b64 s[28:29], vcc, s[28:29]
	s_andn2_b64 exec, exec, s[28:29]
	s_cbranch_execz .LBB19_5
.LBB19_12:                              ;   Parent Loop BB19_8 Depth=1
                                        ; =>  This Loop Header: Depth=2
                                        ;       Child Loop BB19_13 Depth 3
	s_cmp_eq_u32 s5, 0
	s_mov_b32 s30, s5
	s_cbranch_scc1 .LBB19_11
.LBB19_13:                              ;   Parent Loop BB19_8 Depth=1
                                        ;     Parent Loop BB19_12 Depth=2
                                        ; =>    This Inner Loop Header: Depth=3
	s_add_i32 s30, s30, -1
	s_cmp_eq_u32 s30, 0
	s_sleep 1
	s_cbranch_scc0 .LBB19_13
	s_branch .LBB19_11
.LBB19_14:
	s_or_b64 exec, exec, s[16:17]
	s_and_saveexec_b64 s[4:5], s[18:19]
	s_xor_b64 s[4:5], exec, s[4:5]
	s_cbranch_execz .LBB19_26
; %bb.15:
	v_cmp_eq_u64_e32 vcc, v[6:7], v[1:2]
	s_and_saveexec_b64 s[16:17], vcc
	s_cbranch_execz .LBB19_17
; %bb.16:
	v_mov_b32_e32 v9, s9
	v_add_co_u32_e32 v8, vcc, s8, v3
	v_addc_co_u32_e32 v9, vcc, v9, v4, vcc
	global_store_dword v[8:9], v5, off
.LBB19_17:
	s_or_b64 exec, exec, s[16:17]
	v_cmp_lt_i64_e32 vcc, v[6:7], v[1:2]
	s_and_saveexec_b64 s[16:17], vcc
	s_cbranch_execz .LBB19_25
; %bb.18:
	v_subrev_u32_e32 v2, s14, v6
	v_lshlrev_b32_e32 v2, 2, v2
	ds_read_b32 v5, v2
	s_mov_b32 s20, 0
	s_waitcnt lgkmcnt(0)
	v_cmp_eq_u32_e32 vcc, 0, v5
	s_and_saveexec_b64 s[14:15], vcc
	s_cbranch_execz .LBB19_24
; %bb.19:
	s_mov_b64 s[18:19], 0
	s_branch .LBB19_21
.LBB19_20:                              ;   in Loop: Header=BB19_21 Depth=1
	ds_read_b32 v5, v2
	s_cmpk_lt_u32 s20, 0xf43
	s_cselect_b64 s[22:23], -1, 0
	s_cmp_lg_u64 s[22:23], 0
	s_addc_u32 s20, s20, 0
	s_waitcnt lgkmcnt(0)
	v_cmp_ne_u32_e32 vcc, 0, v5
	s_or_b64 s[18:19], vcc, s[18:19]
	s_andn2_b64 exec, exec, s[18:19]
	s_cbranch_execz .LBB19_23
.LBB19_21:                              ; =>This Loop Header: Depth=1
                                        ;     Child Loop BB19_22 Depth 2
	s_cmp_eq_u32 s20, 0
	s_mov_b32 s21, s20
	s_cbranch_scc1 .LBB19_20
.LBB19_22:                              ;   Parent Loop BB19_21 Depth=1
                                        ; =>  This Inner Loop Header: Depth=2
	s_add_i32 s21, s21, -1
	s_cmp_eq_u32 s21, 0
	s_sleep 1
	s_cbranch_scc0 .LBB19_22
	s_branch .LBB19_20
.LBB19_23:
	s_or_b64 exec, exec, s[18:19]
.LBB19_24:
	s_or_b64 exec, exec, s[14:15]
	v_max_i32_e32 v13, v5, v13
.LBB19_25:
	s_or_b64 exec, exec, s[16:17]
	v_mov_b32_e32 v8, v13
.LBB19_26:
	s_or_b64 exec, exec, s[4:5]
.LBB19_27:
	s_or_b64 exec, exec, s[12:13]
	v_mov_b32_dpp v2, v8 row_shr:1 row_mask:0xf bank_mask:0xf
	v_max_i32_e32 v2, v8, v2
	v_cmp_eq_u32_e32 vcc, 63, v0
	s_nop 0
	v_mov_b32_dpp v5, v2 row_shr:2 row_mask:0xf bank_mask:0xf
	v_max_i32_e32 v2, v2, v5
	s_nop 1
	v_mov_b32_dpp v5, v2 row_shr:4 row_mask:0xf bank_mask:0xe
	v_max_i32_e32 v2, v2, v5
	;; [unrolled: 3-line block ×3, first 2 shown]
	s_nop 1
	v_mov_b32_dpp v5, v2 row_bcast:15 row_mask:0xa bank_mask:0xf
	v_max_i32_e32 v2, v2, v5
	s_nop 1
	v_mov_b32_dpp v5, v2 row_bcast:31 row_mask:0xc bank_mask:0xf
	s_and_b64 exec, exec, vcc
	s_cbranch_execz .LBB19_37
; %bb.28:
	v_max_i32_e32 v0, v2, v5
	v_mov_b32_e32 v2, s11
	v_add_co_u32_e32 v5, vcc, s10, v3
	v_add_u32_e32 v0, 1, v0
	v_addc_co_u32_e32 v6, vcc, v2, v4, vcc
	s_mov_b64 s[4:5], exec
	ds_write_b32 v10, v0
	global_store_dword v[5:6], v0, off
	v_sub_u32_e32 v0, v12, v11
	s_brev_b32 s10, 1
.LBB19_29:                              ; =>This Inner Loop Header: Depth=1
	s_ff1_i32_b64 s11, s[4:5]
	v_readlane_b32 s14, v0, s11
	s_lshl_b64 s[12:13], 1, s11
	s_max_i32 s10, s10, s14
	s_andn2_b64 s[4:5], s[4:5], s[12:13]
	s_cmp_lg_u64 s[4:5], 0
	s_cbranch_scc1 .LBB19_29
; %bb.30:
	v_mbcnt_lo_u32_b32 v0, exec_lo, 0
	v_mbcnt_hi_u32_b32 v0, exec_hi, v0
	v_cmp_eq_u32_e32 vcc, 0, v0
	s_and_saveexec_b64 s[4:5], vcc
	s_xor_b64 s[4:5], exec, s[4:5]
	s_cbranch_execz .LBB19_32
; %bb.31:
	v_mov_b32_e32 v0, 0
	v_mov_b32_e32 v2, s10
	global_atomic_smax v0, v2, s[0:1]
.LBB19_32:
	s_or_b64 exec, exec, s[4:5]
	v_mov_b32_e32 v0, s9
	v_add_co_u32_e32 v2, vcc, s8, v3
	v_addc_co_u32_e32 v3, vcc, v0, v4, vcc
	global_load_dword v0, v[2:3], off
	s_cmp_eq_u32 s7, 0
	s_cselect_b64 s[0:1], -1, 0
	s_waitcnt vmcnt(0)
	v_cmp_eq_u32_e32 vcc, -1, v0
	s_and_b64 s[0:1], s[0:1], vcc
	s_and_b64 exec, exec, s[0:1]
	s_cbranch_execz .LBB19_37
; %bb.33:
	v_add_co_u32_e32 v0, vcc, s6, v1
	v_addc_co_u32_e64 v1, s[0:1], 0, 0, vcc
	s_mov_b64 s[4:5], exec
	s_mov_b64 s[0:1], -1
.LBB19_34:                              ; =>This Inner Loop Header: Depth=1
	s_ff1_i32_b64 s8, s[4:5]
	v_readlane_b32 s9, v1, s8
	v_readlane_b32 s10, v0, s8
	v_mov_b32_e32 v2, s10
	v_mov_b32_e32 v3, s9
	v_cmp_lt_u64_e32 vcc, s[0:1], v[2:3]
	s_and_b64 s[6:7], vcc, exec
	s_cselect_b32 s1, s1, s9
	s_cselect_b32 s0, s0, s10
	s_lshl_b64 s[6:7], 1, s8
	s_andn2_b64 s[4:5], s[4:5], s[6:7]
	s_cmp_lg_u64 s[4:5], 0
	s_cbranch_scc1 .LBB19_34
; %bb.35:
	v_mbcnt_lo_u32_b32 v0, exec_lo, 0
	v_mbcnt_hi_u32_b32 v0, exec_hi, v0
	v_cmp_eq_u32_e32 vcc, 0, v0
	s_and_saveexec_b64 s[4:5], vcc
	s_xor_b64 s[4:5], exec, s[4:5]
	s_cbranch_execz .LBB19_37
; %bb.36:
	v_mov_b32_e32 v0, s0
	v_mov_b32_e32 v2, 0
	;; [unrolled: 1-line block ×3, first 2 shown]
	global_atomic_umin_x2 v2, v[0:1], s[2:3]
.LBB19_37:
	s_endpgm
	.section	.rodata,"a",@progbits
	.p2align	6, 0x0
	.amdhsa_kernel _ZN9rocsparseL27csrsv_analysis_lower_kernelILj1024ELj64ELb1EilEEvT3_PKT2_PKS1_PS2_PiS7_PS1_21rocsparse_index_base_20rocsparse_diag_type_
		.amdhsa_group_segment_fixed_size 64
		.amdhsa_private_segment_fixed_size 0
		.amdhsa_kernarg_size 64
		.amdhsa_user_sgpr_count 6
		.amdhsa_user_sgpr_private_segment_buffer 1
		.amdhsa_user_sgpr_dispatch_ptr 0
		.amdhsa_user_sgpr_queue_ptr 0
		.amdhsa_user_sgpr_kernarg_segment_ptr 1
		.amdhsa_user_sgpr_dispatch_id 0
		.amdhsa_user_sgpr_flat_scratch_init 0
		.amdhsa_user_sgpr_private_segment_size 0
		.amdhsa_uses_dynamic_stack 0
		.amdhsa_system_sgpr_private_segment_wavefront_offset 0
		.amdhsa_system_sgpr_workgroup_id_x 1
		.amdhsa_system_sgpr_workgroup_id_y 0
		.amdhsa_system_sgpr_workgroup_id_z 0
		.amdhsa_system_sgpr_workgroup_info 0
		.amdhsa_system_vgpr_workitem_id 0
		.amdhsa_next_free_vgpr 16
		.amdhsa_next_free_sgpr 32
		.amdhsa_reserve_vcc 1
		.amdhsa_reserve_flat_scratch 0
		.amdhsa_float_round_mode_32 0
		.amdhsa_float_round_mode_16_64 0
		.amdhsa_float_denorm_mode_32 3
		.amdhsa_float_denorm_mode_16_64 3
		.amdhsa_dx10_clamp 1
		.amdhsa_ieee_mode 1
		.amdhsa_fp16_overflow 0
		.amdhsa_exception_fp_ieee_invalid_op 0
		.amdhsa_exception_fp_denorm_src 0
		.amdhsa_exception_fp_ieee_div_zero 0
		.amdhsa_exception_fp_ieee_overflow 0
		.amdhsa_exception_fp_ieee_underflow 0
		.amdhsa_exception_fp_ieee_inexact 0
		.amdhsa_exception_int_div_zero 0
	.end_amdhsa_kernel
	.section	.text._ZN9rocsparseL27csrsv_analysis_lower_kernelILj1024ELj64ELb1EilEEvT3_PKT2_PKS1_PS2_PiS7_PS1_21rocsparse_index_base_20rocsparse_diag_type_,"axG",@progbits,_ZN9rocsparseL27csrsv_analysis_lower_kernelILj1024ELj64ELb1EilEEvT3_PKT2_PKS1_PS2_PiS7_PS1_21rocsparse_index_base_20rocsparse_diag_type_,comdat
.Lfunc_end19:
	.size	_ZN9rocsparseL27csrsv_analysis_lower_kernelILj1024ELj64ELb1EilEEvT3_PKT2_PKS1_PS2_PiS7_PS1_21rocsparse_index_base_20rocsparse_diag_type_, .Lfunc_end19-_ZN9rocsparseL27csrsv_analysis_lower_kernelILj1024ELj64ELb1EilEEvT3_PKT2_PKS1_PS2_PiS7_PS1_21rocsparse_index_base_20rocsparse_diag_type_
                                        ; -- End function
	.set _ZN9rocsparseL27csrsv_analysis_lower_kernelILj1024ELj64ELb1EilEEvT3_PKT2_PKS1_PS2_PiS7_PS1_21rocsparse_index_base_20rocsparse_diag_type_.num_vgpr, 16
	.set _ZN9rocsparseL27csrsv_analysis_lower_kernelILj1024ELj64ELb1EilEEvT3_PKT2_PKS1_PS2_PiS7_PS1_21rocsparse_index_base_20rocsparse_diag_type_.num_agpr, 0
	.set _ZN9rocsparseL27csrsv_analysis_lower_kernelILj1024ELj64ELb1EilEEvT3_PKT2_PKS1_PS2_PiS7_PS1_21rocsparse_index_base_20rocsparse_diag_type_.numbered_sgpr, 32
	.set _ZN9rocsparseL27csrsv_analysis_lower_kernelILj1024ELj64ELb1EilEEvT3_PKT2_PKS1_PS2_PiS7_PS1_21rocsparse_index_base_20rocsparse_diag_type_.num_named_barrier, 0
	.set _ZN9rocsparseL27csrsv_analysis_lower_kernelILj1024ELj64ELb1EilEEvT3_PKT2_PKS1_PS2_PiS7_PS1_21rocsparse_index_base_20rocsparse_diag_type_.private_seg_size, 0
	.set _ZN9rocsparseL27csrsv_analysis_lower_kernelILj1024ELj64ELb1EilEEvT3_PKT2_PKS1_PS2_PiS7_PS1_21rocsparse_index_base_20rocsparse_diag_type_.uses_vcc, 1
	.set _ZN9rocsparseL27csrsv_analysis_lower_kernelILj1024ELj64ELb1EilEEvT3_PKT2_PKS1_PS2_PiS7_PS1_21rocsparse_index_base_20rocsparse_diag_type_.uses_flat_scratch, 0
	.set _ZN9rocsparseL27csrsv_analysis_lower_kernelILj1024ELj64ELb1EilEEvT3_PKT2_PKS1_PS2_PiS7_PS1_21rocsparse_index_base_20rocsparse_diag_type_.has_dyn_sized_stack, 0
	.set _ZN9rocsparseL27csrsv_analysis_lower_kernelILj1024ELj64ELb1EilEEvT3_PKT2_PKS1_PS2_PiS7_PS1_21rocsparse_index_base_20rocsparse_diag_type_.has_recursion, 0
	.set _ZN9rocsparseL27csrsv_analysis_lower_kernelILj1024ELj64ELb1EilEEvT3_PKT2_PKS1_PS2_PiS7_PS1_21rocsparse_index_base_20rocsparse_diag_type_.has_indirect_call, 0
	.section	.AMDGPU.csdata,"",@progbits
; Kernel info:
; codeLenInByte = 1132
; TotalNumSgprs: 36
; NumVgprs: 16
; ScratchSize: 0
; MemoryBound: 0
; FloatMode: 240
; IeeeMode: 1
; LDSByteSize: 64 bytes/workgroup (compile time only)
; SGPRBlocks: 4
; VGPRBlocks: 3
; NumSGPRsForWavesPerEU: 36
; NumVGPRsForWavesPerEU: 16
; Occupancy: 10
; WaveLimiterHint : 1
; COMPUTE_PGM_RSRC2:SCRATCH_EN: 0
; COMPUTE_PGM_RSRC2:USER_SGPR: 6
; COMPUTE_PGM_RSRC2:TRAP_HANDLER: 0
; COMPUTE_PGM_RSRC2:TGID_X_EN: 1
; COMPUTE_PGM_RSRC2:TGID_Y_EN: 0
; COMPUTE_PGM_RSRC2:TGID_Z_EN: 0
; COMPUTE_PGM_RSRC2:TIDIG_COMP_CNT: 0
	.section	.text._ZN9rocsparseL27csrsv_analysis_upper_kernelILj1024ELj32ELb0EilEEvT3_PKT2_PKS1_PS2_PiS7_PS1_21rocsparse_index_base_20rocsparse_diag_type_,"axG",@progbits,_ZN9rocsparseL27csrsv_analysis_upper_kernelILj1024ELj32ELb0EilEEvT3_PKT2_PKS1_PS2_PiS7_PS1_21rocsparse_index_base_20rocsparse_diag_type_,comdat
	.globl	_ZN9rocsparseL27csrsv_analysis_upper_kernelILj1024ELj32ELb0EilEEvT3_PKT2_PKS1_PS2_PiS7_PS1_21rocsparse_index_base_20rocsparse_diag_type_ ; -- Begin function _ZN9rocsparseL27csrsv_analysis_upper_kernelILj1024ELj32ELb0EilEEvT3_PKT2_PKS1_PS2_PiS7_PS1_21rocsparse_index_base_20rocsparse_diag_type_
	.p2align	8
	.type	_ZN9rocsparseL27csrsv_analysis_upper_kernelILj1024ELj32ELb0EilEEvT3_PKT2_PKS1_PS2_PiS7_PS1_21rocsparse_index_base_20rocsparse_diag_type_,@function
_ZN9rocsparseL27csrsv_analysis_upper_kernelILj1024ELj32ELb0EilEEvT3_PKT2_PKS1_PS2_PiS7_PS1_21rocsparse_index_base_20rocsparse_diag_type_: ; @_ZN9rocsparseL27csrsv_analysis_upper_kernelILj1024ELj32ELb0EilEEvT3_PKT2_PKS1_PS2_PiS7_PS1_21rocsparse_index_base_20rocsparse_diag_type_
; %bb.0:
	s_load_dwordx2 s[12:13], s[4:5], 0x0
	s_lshl_b32 s14, s6, 5
	s_mov_b32 s15, 0
	s_not_b64 s[0:1], s[14:15]
	v_lshrrev_b32_e32 v3, 5, v0
	s_waitcnt lgkmcnt(0)
	s_add_u32 s18, s12, s0
	s_addc_u32 s19, s13, s1
	v_mov_b32_e32 v2, s19
	v_sub_co_u32_e32 v1, vcc, s18, v3
	v_subbrev_co_u32_e32 v2, vcc, 0, v2, vcc
	v_cmp_lt_i64_e32 vcc, -1, v[1:2]
	v_mov_b32_e32 v4, 0
	v_lshlrev_b32_e32 v10, 2, v3
	ds_write_b32 v10, v4
	s_waitcnt lgkmcnt(0)
	s_barrier
	s_and_saveexec_b64 s[0:1], vcc
	s_cbranch_execz .LBB20_33
; %bb.1:
	s_load_dwordx2 s[0:1], s[4:5], 0x8
	s_load_dwordx4 s[8:11], s[4:5], 0x18
	v_and_b32_e32 v0, 31, v0
	v_lshlrev_b64 v[3:4], 2, v[1:2]
	v_cmp_eq_u32_e32 vcc, 0, v0
	s_and_saveexec_b64 s[2:3], vcc
	s_cbranch_execz .LBB20_3
; %bb.2:
	s_waitcnt lgkmcnt(0)
	v_mov_b32_e32 v6, s9
	v_add_co_u32_e32 v5, vcc, s8, v3
	v_addc_co_u32_e32 v6, vcc, v6, v4, vcc
	v_mov_b32_e32 v7, -1
	global_store_dword v[5:6], v7, off
.LBB20_3:
	s_or_b64 exec, exec, s[2:3]
	s_waitcnt lgkmcnt(0)
	v_mov_b32_e32 v6, s1
	v_add_co_u32_e32 v5, vcc, s0, v3
	v_addc_co_u32_e32 v6, vcc, v6, v4, vcc
	global_load_dwordx2 v[5:6], v[5:6], off
	s_load_dwordx2 s[6:7], s[4:5], 0x38
	s_load_dwordx4 s[0:3], s[4:5], 0x28
	v_mov_b32_e32 v8, 0
	s_waitcnt vmcnt(0) lgkmcnt(0)
	v_subrev_u32_e32 v12, s6, v6
	v_subrev_u32_e32 v11, s6, v5
	v_xad_u32 v9, v0, -1, v12
	v_cmp_ge_i32_e32 vcc, v9, v11
	s_and_saveexec_b64 s[16:17], vcc
	s_cbranch_execz .LBB20_23
; %bb.4:
	s_load_dwordx2 s[4:5], s[4:5], 0x10
	v_mov_b32_e32 v8, 0
	s_mov_b64 s[20:21], 0
                                        ; implicit-def: $sgpr22_sgpr23
                                        ; implicit-def: $sgpr26_sgpr27
                                        ; implicit-def: $sgpr24_sgpr25
	s_waitcnt lgkmcnt(0)
	v_mov_b32_e32 v14, s5
	s_branch .LBB20_7
.LBB20_5:                               ;   in Loop: Header=BB20_7 Depth=1
	s_or_b64 exec, exec, s[30:31]
	v_subrev_u32_e32 v9, 32, v5
	v_cmp_lt_i32_e32 vcc, v9, v11
	s_andn2_b64 s[26:27], s[26:27], exec
	s_and_b64 s[30:31], vcc, exec
	v_max_i32_e32 v8, v15, v13
	s_andn2_b64 s[24:25], s[24:25], exec
	s_or_b64 s[26:27], s[26:27], s[30:31]
.LBB20_6:                               ;   in Loop: Header=BB20_7 Depth=1
	s_or_b64 exec, exec, s[28:29]
	s_and_b64 s[28:29], exec, s[26:27]
	s_or_b64 s[20:21], s[28:29], s[20:21]
	s_andn2_b64 s[22:23], s[22:23], exec
	s_and_b64 s[28:29], s[24:25], exec
	s_or_b64 s[22:23], s[22:23], s[28:29]
	s_andn2_b64 exec, exec, s[20:21]
	s_cbranch_execz .LBB20_12
.LBB20_7:                               ; =>This Loop Header: Depth=1
                                        ;     Child Loop BB20_10 Depth 2
	v_mov_b32_e32 v5, v9
	v_ashrrev_i32_e32 v6, 31, v5
	v_lshlrev_b64 v[6:7], 3, v[5:6]
	v_mov_b32_e32 v13, v8
	v_add_co_u32_e32 v6, vcc, s4, v6
	v_addc_co_u32_e32 v7, vcc, v14, v7, vcc
	global_load_dwordx2 v[6:7], v[6:7], off glc slc
	s_or_b64 s[24:25], s[24:25], exec
	s_or_b64 s[26:27], s[26:27], exec
                                        ; implicit-def: $vgpr9
                                        ; implicit-def: $vgpr8
	s_waitcnt vmcnt(0)
	v_subrev_co_u32_e32 v6, vcc, s6, v6
	v_subbrev_co_u32_e32 v7, vcc, 0, v7, vcc
	v_cmp_lt_i64_e32 vcc, s[18:19], v[6:7]
	s_and_saveexec_b64 s[28:29], vcc
	s_cbranch_execz .LBB20_6
; %bb.8:                                ;   in Loop: Header=BB20_7 Depth=1
	v_lshlrev_b64 v[8:9], 2, v[6:7]
	v_mov_b32_e32 v15, s11
	v_add_co_u32_e32 v8, vcc, s10, v8
	v_addc_co_u32_e32 v9, vcc, v15, v9, vcc
	global_load_dword v15, v[8:9], off glc
	s_waitcnt vmcnt(0)
	v_cmp_eq_u32_e32 vcc, 0, v15
	s_and_saveexec_b64 s[30:31], vcc
	s_cbranch_execz .LBB20_5
; %bb.9:                                ;   in Loop: Header=BB20_7 Depth=1
	s_mov_b64 s[34:35], 0
.LBB20_10:                              ;   Parent Loop BB20_7 Depth=1
                                        ; =>  This Inner Loop Header: Depth=2
	global_load_dword v15, v[8:9], off glc
	s_waitcnt vmcnt(0)
	v_cmp_ne_u32_e32 vcc, 0, v15
	s_or_b64 s[34:35], vcc, s[34:35]
	s_andn2_b64 exec, exec, s[34:35]
	s_cbranch_execnz .LBB20_10
; %bb.11:                               ;   in Loop: Header=BB20_7 Depth=1
	s_or_b64 exec, exec, s[34:35]
	s_branch .LBB20_5
.LBB20_12:
	s_or_b64 exec, exec, s[20:21]
	s_and_saveexec_b64 s[4:5], s[22:23]
	s_xor_b64 s[4:5], exec, s[4:5]
	s_cbranch_execz .LBB20_22
; %bb.13:
	v_cmp_eq_u64_e32 vcc, v[6:7], v[1:2]
	s_and_saveexec_b64 s[18:19], vcc
	s_cbranch_execz .LBB20_15
; %bb.14:
	v_mov_b32_e32 v9, s9
	v_add_co_u32_e32 v8, vcc, s8, v3
	v_addc_co_u32_e32 v9, vcc, v9, v4, vcc
	global_store_dword v[8:9], v5, off
.LBB20_15:
	s_or_b64 exec, exec, s[18:19]
	v_cmp_gt_i64_e32 vcc, v[6:7], v[1:2]
	s_and_saveexec_b64 s[18:19], vcc
	s_cbranch_execz .LBB20_21
; %bb.16:
	s_xor_b32 s13, s14, 0x3fffffe0
	s_add_i32 s12, s12, s13
	v_sub_u32_e32 v5, s12, v6
	v_lshlrev_b32_e32 v6, 2, v5
	ds_read_b32 v5, v6 offset:124
	s_waitcnt lgkmcnt(0)
	v_cmp_eq_u32_e32 vcc, 0, v5
	s_and_saveexec_b64 s[12:13], vcc
	s_cbranch_execz .LBB20_20
; %bb.17:
	s_mov_b64 s[14:15], 0
.LBB20_18:                              ; =>This Inner Loop Header: Depth=1
	ds_read_b32 v5, v6 offset:124
	s_waitcnt lgkmcnt(0)
	v_cmp_ne_u32_e32 vcc, 0, v5
	s_or_b64 s[14:15], vcc, s[14:15]
	s_andn2_b64 exec, exec, s[14:15]
	s_cbranch_execnz .LBB20_18
; %bb.19:
	s_or_b64 exec, exec, s[14:15]
.LBB20_20:
	s_or_b64 exec, exec, s[12:13]
	v_max_i32_e32 v13, v5, v13
.LBB20_21:
	s_or_b64 exec, exec, s[18:19]
	v_mov_b32_e32 v8, v13
.LBB20_22:
	s_or_b64 exec, exec, s[4:5]
.LBB20_23:
	s_or_b64 exec, exec, s[16:17]
	v_mov_b32_dpp v5, v8 row_shr:1 row_mask:0xf bank_mask:0xf
	v_max_i32_e32 v5, v8, v5
	v_cmp_eq_u32_e32 vcc, 31, v0
	s_nop 0
	v_mov_b32_dpp v6, v5 row_shr:2 row_mask:0xf bank_mask:0xf
	v_max_i32_e32 v5, v5, v6
	s_nop 1
	v_mov_b32_dpp v6, v5 row_shr:4 row_mask:0xf bank_mask:0xe
	v_max_i32_e32 v5, v5, v6
	;; [unrolled: 3-line block ×3, first 2 shown]
	s_nop 1
	v_mov_b32_dpp v6, v5 row_bcast:15 row_mask:0xa bank_mask:0xf
	s_and_b64 exec, exec, vcc
	s_cbranch_execz .LBB20_33
; %bb.24:
	v_max_i32_e32 v0, v5, v6
	v_mov_b32_e32 v6, s11
	v_add_co_u32_e32 v5, vcc, s10, v3
	v_add_u32_e32 v0, 1, v0
	v_addc_co_u32_e32 v6, vcc, v6, v4, vcc
	s_mov_b64 s[4:5], exec
	ds_write_b32 v10, v0
	global_store_dword v[5:6], v0, off
	v_sub_u32_e32 v0, v12, v11
	s_brev_b32 s10, 1
.LBB20_25:                              ; =>This Inner Loop Header: Depth=1
	s_ff1_i32_b64 s11, s[4:5]
	v_readlane_b32 s14, v0, s11
	s_lshl_b64 s[12:13], 1, s11
	s_max_i32 s10, s10, s14
	s_andn2_b64 s[4:5], s[4:5], s[12:13]
	s_cmp_lg_u64 s[4:5], 0
	s_cbranch_scc1 .LBB20_25
; %bb.26:
	v_mbcnt_lo_u32_b32 v0, exec_lo, 0
	v_mbcnt_hi_u32_b32 v0, exec_hi, v0
	v_cmp_eq_u32_e32 vcc, 0, v0
	s_and_saveexec_b64 s[4:5], vcc
	s_xor_b64 s[4:5], exec, s[4:5]
	s_cbranch_execz .LBB20_28
; %bb.27:
	v_mov_b32_e32 v0, 0
	v_mov_b32_e32 v5, s10
	global_atomic_smax v0, v5, s[0:1]
.LBB20_28:
	s_or_b64 exec, exec, s[4:5]
	v_mov_b32_e32 v0, s9
	v_add_co_u32_e32 v3, vcc, s8, v3
	v_addc_co_u32_e32 v4, vcc, v0, v4, vcc
	global_load_dword v0, v[3:4], off
	s_cmp_eq_u32 s7, 0
	s_cselect_b64 s[0:1], -1, 0
	s_waitcnt vmcnt(0)
	v_cmp_eq_u32_e32 vcc, -1, v0
	s_and_b64 s[0:1], s[0:1], vcc
	s_and_b64 exec, exec, s[0:1]
	s_cbranch_execz .LBB20_33
; %bb.29:
	v_add_co_u32_e32 v0, vcc, s6, v1
	s_mov_b64 s[4:5], exec
	v_addc_co_u32_e32 v1, vcc, 0, v2, vcc
	s_mov_b64 s[0:1], -1
.LBB20_30:                              ; =>This Inner Loop Header: Depth=1
	s_ff1_i32_b64 s8, s[4:5]
	v_readlane_b32 s9, v1, s8
	v_readlane_b32 s10, v0, s8
	v_mov_b32_e32 v2, s10
	v_mov_b32_e32 v3, s9
	v_cmp_lt_u64_e32 vcc, s[0:1], v[2:3]
	s_and_b64 s[6:7], vcc, exec
	s_cselect_b32 s1, s1, s9
	s_cselect_b32 s0, s0, s10
	s_lshl_b64 s[6:7], 1, s8
	s_andn2_b64 s[4:5], s[4:5], s[6:7]
	s_cmp_lg_u64 s[4:5], 0
	s_cbranch_scc1 .LBB20_30
; %bb.31:
	v_mbcnt_lo_u32_b32 v0, exec_lo, 0
	v_mbcnt_hi_u32_b32 v0, exec_hi, v0
	v_cmp_eq_u32_e32 vcc, 0, v0
	s_and_saveexec_b64 s[4:5], vcc
	s_xor_b64 s[4:5], exec, s[4:5]
	s_cbranch_execz .LBB20_33
; %bb.32:
	v_mov_b32_e32 v0, s0
	v_mov_b32_e32 v2, 0
	;; [unrolled: 1-line block ×3, first 2 shown]
	global_atomic_umin_x2 v2, v[0:1], s[2:3]
.LBB20_33:
	s_endpgm
	.section	.rodata,"a",@progbits
	.p2align	6, 0x0
	.amdhsa_kernel _ZN9rocsparseL27csrsv_analysis_upper_kernelILj1024ELj32ELb0EilEEvT3_PKT2_PKS1_PS2_PiS7_PS1_21rocsparse_index_base_20rocsparse_diag_type_
		.amdhsa_group_segment_fixed_size 128
		.amdhsa_private_segment_fixed_size 0
		.amdhsa_kernarg_size 64
		.amdhsa_user_sgpr_count 6
		.amdhsa_user_sgpr_private_segment_buffer 1
		.amdhsa_user_sgpr_dispatch_ptr 0
		.amdhsa_user_sgpr_queue_ptr 0
		.amdhsa_user_sgpr_kernarg_segment_ptr 1
		.amdhsa_user_sgpr_dispatch_id 0
		.amdhsa_user_sgpr_flat_scratch_init 0
		.amdhsa_user_sgpr_private_segment_size 0
		.amdhsa_uses_dynamic_stack 0
		.amdhsa_system_sgpr_private_segment_wavefront_offset 0
		.amdhsa_system_sgpr_workgroup_id_x 1
		.amdhsa_system_sgpr_workgroup_id_y 0
		.amdhsa_system_sgpr_workgroup_id_z 0
		.amdhsa_system_sgpr_workgroup_info 0
		.amdhsa_system_vgpr_workitem_id 0
		.amdhsa_next_free_vgpr 16
		.amdhsa_next_free_sgpr 36
		.amdhsa_reserve_vcc 1
		.amdhsa_reserve_flat_scratch 0
		.amdhsa_float_round_mode_32 0
		.amdhsa_float_round_mode_16_64 0
		.amdhsa_float_denorm_mode_32 3
		.amdhsa_float_denorm_mode_16_64 3
		.amdhsa_dx10_clamp 1
		.amdhsa_ieee_mode 1
		.amdhsa_fp16_overflow 0
		.amdhsa_exception_fp_ieee_invalid_op 0
		.amdhsa_exception_fp_denorm_src 0
		.amdhsa_exception_fp_ieee_div_zero 0
		.amdhsa_exception_fp_ieee_overflow 0
		.amdhsa_exception_fp_ieee_underflow 0
		.amdhsa_exception_fp_ieee_inexact 0
		.amdhsa_exception_int_div_zero 0
	.end_amdhsa_kernel
	.section	.text._ZN9rocsparseL27csrsv_analysis_upper_kernelILj1024ELj32ELb0EilEEvT3_PKT2_PKS1_PS2_PiS7_PS1_21rocsparse_index_base_20rocsparse_diag_type_,"axG",@progbits,_ZN9rocsparseL27csrsv_analysis_upper_kernelILj1024ELj32ELb0EilEEvT3_PKT2_PKS1_PS2_PiS7_PS1_21rocsparse_index_base_20rocsparse_diag_type_,comdat
.Lfunc_end20:
	.size	_ZN9rocsparseL27csrsv_analysis_upper_kernelILj1024ELj32ELb0EilEEvT3_PKT2_PKS1_PS2_PiS7_PS1_21rocsparse_index_base_20rocsparse_diag_type_, .Lfunc_end20-_ZN9rocsparseL27csrsv_analysis_upper_kernelILj1024ELj32ELb0EilEEvT3_PKT2_PKS1_PS2_PiS7_PS1_21rocsparse_index_base_20rocsparse_diag_type_
                                        ; -- End function
	.set _ZN9rocsparseL27csrsv_analysis_upper_kernelILj1024ELj32ELb0EilEEvT3_PKT2_PKS1_PS2_PiS7_PS1_21rocsparse_index_base_20rocsparse_diag_type_.num_vgpr, 16
	.set _ZN9rocsparseL27csrsv_analysis_upper_kernelILj1024ELj32ELb0EilEEvT3_PKT2_PKS1_PS2_PiS7_PS1_21rocsparse_index_base_20rocsparse_diag_type_.num_agpr, 0
	.set _ZN9rocsparseL27csrsv_analysis_upper_kernelILj1024ELj32ELb0EilEEvT3_PKT2_PKS1_PS2_PiS7_PS1_21rocsparse_index_base_20rocsparse_diag_type_.numbered_sgpr, 36
	.set _ZN9rocsparseL27csrsv_analysis_upper_kernelILj1024ELj32ELb0EilEEvT3_PKT2_PKS1_PS2_PiS7_PS1_21rocsparse_index_base_20rocsparse_diag_type_.num_named_barrier, 0
	.set _ZN9rocsparseL27csrsv_analysis_upper_kernelILj1024ELj32ELb0EilEEvT3_PKT2_PKS1_PS2_PiS7_PS1_21rocsparse_index_base_20rocsparse_diag_type_.private_seg_size, 0
	.set _ZN9rocsparseL27csrsv_analysis_upper_kernelILj1024ELj32ELb0EilEEvT3_PKT2_PKS1_PS2_PiS7_PS1_21rocsparse_index_base_20rocsparse_diag_type_.uses_vcc, 1
	.set _ZN9rocsparseL27csrsv_analysis_upper_kernelILj1024ELj32ELb0EilEEvT3_PKT2_PKS1_PS2_PiS7_PS1_21rocsparse_index_base_20rocsparse_diag_type_.uses_flat_scratch, 0
	.set _ZN9rocsparseL27csrsv_analysis_upper_kernelILj1024ELj32ELb0EilEEvT3_PKT2_PKS1_PS2_PiS7_PS1_21rocsparse_index_base_20rocsparse_diag_type_.has_dyn_sized_stack, 0
	.set _ZN9rocsparseL27csrsv_analysis_upper_kernelILj1024ELj32ELb0EilEEvT3_PKT2_PKS1_PS2_PiS7_PS1_21rocsparse_index_base_20rocsparse_diag_type_.has_recursion, 0
	.set _ZN9rocsparseL27csrsv_analysis_upper_kernelILj1024ELj32ELb0EilEEvT3_PKT2_PKS1_PS2_PiS7_PS1_21rocsparse_index_base_20rocsparse_diag_type_.has_indirect_call, 0
	.section	.AMDGPU.csdata,"",@progbits
; Kernel info:
; codeLenInByte = 1040
; TotalNumSgprs: 40
; NumVgprs: 16
; ScratchSize: 0
; MemoryBound: 0
; FloatMode: 240
; IeeeMode: 1
; LDSByteSize: 128 bytes/workgroup (compile time only)
; SGPRBlocks: 4
; VGPRBlocks: 3
; NumSGPRsForWavesPerEU: 40
; NumVGPRsForWavesPerEU: 16
; Occupancy: 10
; WaveLimiterHint : 1
; COMPUTE_PGM_RSRC2:SCRATCH_EN: 0
; COMPUTE_PGM_RSRC2:USER_SGPR: 6
; COMPUTE_PGM_RSRC2:TRAP_HANDLER: 0
; COMPUTE_PGM_RSRC2:TGID_X_EN: 1
; COMPUTE_PGM_RSRC2:TGID_Y_EN: 0
; COMPUTE_PGM_RSRC2:TGID_Z_EN: 0
; COMPUTE_PGM_RSRC2:TIDIG_COMP_CNT: 0
	.section	.text._ZN9rocsparseL27csrsv_analysis_lower_kernelILj1024ELj32ELb0EilEEvT3_PKT2_PKS1_PS2_PiS7_PS1_21rocsparse_index_base_20rocsparse_diag_type_,"axG",@progbits,_ZN9rocsparseL27csrsv_analysis_lower_kernelILj1024ELj32ELb0EilEEvT3_PKT2_PKS1_PS2_PiS7_PS1_21rocsparse_index_base_20rocsparse_diag_type_,comdat
	.globl	_ZN9rocsparseL27csrsv_analysis_lower_kernelILj1024ELj32ELb0EilEEvT3_PKT2_PKS1_PS2_PiS7_PS1_21rocsparse_index_base_20rocsparse_diag_type_ ; -- Begin function _ZN9rocsparseL27csrsv_analysis_lower_kernelILj1024ELj32ELb0EilEEvT3_PKT2_PKS1_PS2_PiS7_PS1_21rocsparse_index_base_20rocsparse_diag_type_
	.p2align	8
	.type	_ZN9rocsparseL27csrsv_analysis_lower_kernelILj1024ELj32ELb0EilEEvT3_PKT2_PKS1_PS2_PiS7_PS1_21rocsparse_index_base_20rocsparse_diag_type_,@function
_ZN9rocsparseL27csrsv_analysis_lower_kernelILj1024ELj32ELb0EilEEvT3_PKT2_PKS1_PS2_PiS7_PS1_21rocsparse_index_base_20rocsparse_diag_type_: ; @_ZN9rocsparseL27csrsv_analysis_lower_kernelILj1024ELj32ELb0EilEEvT3_PKT2_PKS1_PS2_PiS7_PS1_21rocsparse_index_base_20rocsparse_diag_type_
; %bb.0:
	s_load_dwordx2 s[0:1], s[4:5], 0x0
	v_lshrrev_b32_e32 v3, 5, v0
	s_lshl_b32 s12, s6, 5
	v_or_b32_e32 v1, s12, v3
	v_mov_b32_e32 v2, 0
	s_waitcnt lgkmcnt(0)
	v_cmp_gt_i64_e32 vcc, s[0:1], v[1:2]
	v_lshlrev_b32_e32 v10, 2, v3
	ds_write_b32 v10, v2
	s_waitcnt lgkmcnt(0)
	s_barrier
	s_and_saveexec_b64 s[0:1], vcc
	s_cbranch_execz .LBB21_33
; %bb.1:
	s_load_dwordx2 s[0:1], s[4:5], 0x8
	s_load_dwordx4 s[8:11], s[4:5], 0x18
	v_and_b32_e32 v0, 31, v0
	v_lshlrev_b64 v[3:4], 2, v[1:2]
	v_cmp_eq_u32_e32 vcc, 0, v0
	s_and_saveexec_b64 s[2:3], vcc
	s_cbranch_execz .LBB21_3
; %bb.2:
	s_waitcnt lgkmcnt(0)
	v_mov_b32_e32 v6, s9
	v_add_co_u32_e32 v5, vcc, s8, v3
	v_addc_co_u32_e32 v6, vcc, v6, v4, vcc
	v_mov_b32_e32 v7, -1
	global_store_dword v[5:6], v7, off
.LBB21_3:
	s_or_b64 exec, exec, s[2:3]
	s_waitcnt lgkmcnt(0)
	v_mov_b32_e32 v6, s1
	v_add_co_u32_e32 v5, vcc, s0, v3
	v_addc_co_u32_e32 v6, vcc, v6, v4, vcc
	global_load_dwordx2 v[5:6], v[5:6], off
	s_load_dwordx2 s[6:7], s[4:5], 0x38
	s_load_dwordx4 s[0:3], s[4:5], 0x28
	v_mov_b32_e32 v8, 0
	s_waitcnt vmcnt(0) lgkmcnt(0)
	v_subrev_u32_e32 v11, s6, v5
	v_subrev_u32_e32 v12, s6, v6
	v_add_u32_e32 v9, v11, v0
	v_cmp_lt_i32_e32 vcc, v9, v12
	s_and_saveexec_b64 s[14:15], vcc
	s_cbranch_execz .LBB21_23
; %bb.4:
	s_load_dwordx2 s[4:5], s[4:5], 0x10
	s_mov_b32 s13, 0
	v_mov_b32_e32 v8, 0
	s_mov_b64 s[16:17], 0
                                        ; implicit-def: $sgpr18_sgpr19
                                        ; implicit-def: $sgpr22_sgpr23
                                        ; implicit-def: $sgpr20_sgpr21
	s_waitcnt lgkmcnt(0)
	v_mov_b32_e32 v14, s5
	s_branch .LBB21_7
.LBB21_5:                               ;   in Loop: Header=BB21_7 Depth=1
	s_or_b64 exec, exec, s[26:27]
	v_add_u32_e32 v9, 32, v5
	v_cmp_ge_i32_e32 vcc, v9, v12
	s_andn2_b64 s[22:23], s[22:23], exec
	s_and_b64 s[26:27], vcc, exec
	v_max_i32_e32 v8, v15, v13
	s_andn2_b64 s[20:21], s[20:21], exec
	s_or_b64 s[22:23], s[22:23], s[26:27]
.LBB21_6:                               ;   in Loop: Header=BB21_7 Depth=1
	s_or_b64 exec, exec, s[24:25]
	s_and_b64 s[24:25], exec, s[22:23]
	s_or_b64 s[16:17], s[24:25], s[16:17]
	s_andn2_b64 s[18:19], s[18:19], exec
	s_and_b64 s[24:25], s[20:21], exec
	s_or_b64 s[18:19], s[18:19], s[24:25]
	s_andn2_b64 exec, exec, s[16:17]
	s_cbranch_execz .LBB21_12
.LBB21_7:                               ; =>This Loop Header: Depth=1
                                        ;     Child Loop BB21_10 Depth 2
	v_mov_b32_e32 v5, v9
	v_ashrrev_i32_e32 v6, 31, v5
	v_lshlrev_b64 v[6:7], 3, v[5:6]
	v_mov_b32_e32 v13, v8
	v_add_co_u32_e32 v6, vcc, s4, v6
	v_addc_co_u32_e32 v7, vcc, v14, v7, vcc
	global_load_dwordx2 v[6:7], v[6:7], off glc slc
	s_or_b64 s[20:21], s[20:21], exec
	s_or_b64 s[22:23], s[22:23], exec
                                        ; implicit-def: $vgpr9
                                        ; implicit-def: $vgpr8
	s_waitcnt vmcnt(0)
	v_subrev_co_u32_e32 v6, vcc, s6, v6
	v_subbrev_co_u32_e32 v7, vcc, 0, v7, vcc
	v_cmp_gt_i64_e32 vcc, s[12:13], v[6:7]
	s_and_saveexec_b64 s[24:25], vcc
	s_cbranch_execz .LBB21_6
; %bb.8:                                ;   in Loop: Header=BB21_7 Depth=1
	v_lshlrev_b64 v[8:9], 2, v[6:7]
	v_mov_b32_e32 v15, s11
	v_add_co_u32_e32 v8, vcc, s10, v8
	v_addc_co_u32_e32 v9, vcc, v15, v9, vcc
	global_load_dword v15, v[8:9], off glc
	s_waitcnt vmcnt(0)
	v_cmp_eq_u32_e32 vcc, 0, v15
	s_and_saveexec_b64 s[26:27], vcc
	s_cbranch_execz .LBB21_5
; %bb.9:                                ;   in Loop: Header=BB21_7 Depth=1
	s_mov_b64 s[28:29], 0
.LBB21_10:                              ;   Parent Loop BB21_7 Depth=1
                                        ; =>  This Inner Loop Header: Depth=2
	global_load_dword v15, v[8:9], off glc
	s_waitcnt vmcnt(0)
	v_cmp_ne_u32_e32 vcc, 0, v15
	s_or_b64 s[28:29], vcc, s[28:29]
	s_andn2_b64 exec, exec, s[28:29]
	s_cbranch_execnz .LBB21_10
; %bb.11:                               ;   in Loop: Header=BB21_7 Depth=1
	s_or_b64 exec, exec, s[28:29]
	s_branch .LBB21_5
.LBB21_12:
	s_or_b64 exec, exec, s[16:17]
	s_and_saveexec_b64 s[4:5], s[18:19]
	s_xor_b64 s[4:5], exec, s[4:5]
	s_cbranch_execz .LBB21_22
; %bb.13:
	v_cmp_eq_u64_e32 vcc, v[6:7], v[1:2]
	s_and_saveexec_b64 s[16:17], vcc
	s_cbranch_execz .LBB21_15
; %bb.14:
	v_mov_b32_e32 v9, s9
	v_add_co_u32_e32 v8, vcc, s8, v3
	v_addc_co_u32_e32 v9, vcc, v9, v4, vcc
	global_store_dword v[8:9], v5, off
.LBB21_15:
	s_or_b64 exec, exec, s[16:17]
	v_cmp_lt_i64_e32 vcc, v[6:7], v[1:2]
	s_and_saveexec_b64 s[16:17], vcc
	s_cbranch_execz .LBB21_21
; %bb.16:
	v_subrev_u32_e32 v2, s12, v6
	v_lshlrev_b32_e32 v5, 2, v2
	ds_read_b32 v2, v5
	s_waitcnt lgkmcnt(0)
	v_cmp_eq_u32_e32 vcc, 0, v2
	s_and_saveexec_b64 s[12:13], vcc
	s_cbranch_execz .LBB21_20
; %bb.17:
	s_mov_b64 s[18:19], 0
.LBB21_18:                              ; =>This Inner Loop Header: Depth=1
	ds_read_b32 v2, v5
	s_waitcnt lgkmcnt(0)
	v_cmp_ne_u32_e32 vcc, 0, v2
	s_or_b64 s[18:19], vcc, s[18:19]
	s_andn2_b64 exec, exec, s[18:19]
	s_cbranch_execnz .LBB21_18
; %bb.19:
	s_or_b64 exec, exec, s[18:19]
.LBB21_20:
	s_or_b64 exec, exec, s[12:13]
	v_max_i32_e32 v13, v2, v13
.LBB21_21:
	s_or_b64 exec, exec, s[16:17]
	v_mov_b32_e32 v8, v13
.LBB21_22:
	s_or_b64 exec, exec, s[4:5]
.LBB21_23:
	s_or_b64 exec, exec, s[14:15]
	v_mov_b32_dpp v2, v8 row_shr:1 row_mask:0xf bank_mask:0xf
	v_max_i32_e32 v2, v8, v2
	v_cmp_eq_u32_e32 vcc, 31, v0
	s_nop 0
	v_mov_b32_dpp v5, v2 row_shr:2 row_mask:0xf bank_mask:0xf
	v_max_i32_e32 v2, v2, v5
	s_nop 1
	v_mov_b32_dpp v5, v2 row_shr:4 row_mask:0xf bank_mask:0xe
	v_max_i32_e32 v2, v2, v5
	;; [unrolled: 3-line block ×3, first 2 shown]
	s_nop 1
	v_mov_b32_dpp v5, v2 row_bcast:15 row_mask:0xa bank_mask:0xf
	s_and_b64 exec, exec, vcc
	s_cbranch_execz .LBB21_33
; %bb.24:
	v_max_i32_e32 v0, v2, v5
	v_mov_b32_e32 v2, s11
	v_add_co_u32_e32 v5, vcc, s10, v3
	v_add_u32_e32 v0, 1, v0
	v_addc_co_u32_e32 v6, vcc, v2, v4, vcc
	s_mov_b64 s[4:5], exec
	ds_write_b32 v10, v0
	global_store_dword v[5:6], v0, off
	v_sub_u32_e32 v0, v12, v11
	s_brev_b32 s10, 1
.LBB21_25:                              ; =>This Inner Loop Header: Depth=1
	s_ff1_i32_b64 s11, s[4:5]
	v_readlane_b32 s14, v0, s11
	s_lshl_b64 s[12:13], 1, s11
	s_max_i32 s10, s10, s14
	s_andn2_b64 s[4:5], s[4:5], s[12:13]
	s_cmp_lg_u64 s[4:5], 0
	s_cbranch_scc1 .LBB21_25
; %bb.26:
	v_mbcnt_lo_u32_b32 v0, exec_lo, 0
	v_mbcnt_hi_u32_b32 v0, exec_hi, v0
	v_cmp_eq_u32_e32 vcc, 0, v0
	s_and_saveexec_b64 s[4:5], vcc
	s_xor_b64 s[4:5], exec, s[4:5]
	s_cbranch_execz .LBB21_28
; %bb.27:
	v_mov_b32_e32 v0, 0
	v_mov_b32_e32 v2, s10
	global_atomic_smax v0, v2, s[0:1]
.LBB21_28:
	s_or_b64 exec, exec, s[4:5]
	v_mov_b32_e32 v0, s9
	v_add_co_u32_e32 v2, vcc, s8, v3
	v_addc_co_u32_e32 v3, vcc, v0, v4, vcc
	global_load_dword v0, v[2:3], off
	s_cmp_eq_u32 s7, 0
	s_cselect_b64 s[0:1], -1, 0
	s_waitcnt vmcnt(0)
	v_cmp_eq_u32_e32 vcc, -1, v0
	s_and_b64 s[0:1], s[0:1], vcc
	s_and_b64 exec, exec, s[0:1]
	s_cbranch_execz .LBB21_33
; %bb.29:
	v_add_co_u32_e32 v0, vcc, s6, v1
	v_addc_co_u32_e64 v1, s[0:1], 0, 0, vcc
	s_mov_b64 s[4:5], exec
	s_mov_b64 s[0:1], -1
.LBB21_30:                              ; =>This Inner Loop Header: Depth=1
	s_ff1_i32_b64 s8, s[4:5]
	v_readlane_b32 s9, v1, s8
	v_readlane_b32 s10, v0, s8
	v_mov_b32_e32 v2, s10
	v_mov_b32_e32 v3, s9
	v_cmp_lt_u64_e32 vcc, s[0:1], v[2:3]
	s_and_b64 s[6:7], vcc, exec
	s_cselect_b32 s1, s1, s9
	s_cselect_b32 s0, s0, s10
	s_lshl_b64 s[6:7], 1, s8
	s_andn2_b64 s[4:5], s[4:5], s[6:7]
	s_cmp_lg_u64 s[4:5], 0
	s_cbranch_scc1 .LBB21_30
; %bb.31:
	v_mbcnt_lo_u32_b32 v0, exec_lo, 0
	v_mbcnt_hi_u32_b32 v0, exec_hi, v0
	v_cmp_eq_u32_e32 vcc, 0, v0
	s_and_saveexec_b64 s[4:5], vcc
	s_xor_b64 s[4:5], exec, s[4:5]
	s_cbranch_execz .LBB21_33
; %bb.32:
	v_mov_b32_e32 v0, s0
	v_mov_b32_e32 v2, 0
	v_mov_b32_e32 v1, s1
	global_atomic_umin_x2 v2, v[0:1], s[2:3]
.LBB21_33:
	s_endpgm
	.section	.rodata,"a",@progbits
	.p2align	6, 0x0
	.amdhsa_kernel _ZN9rocsparseL27csrsv_analysis_lower_kernelILj1024ELj32ELb0EilEEvT3_PKT2_PKS1_PS2_PiS7_PS1_21rocsparse_index_base_20rocsparse_diag_type_
		.amdhsa_group_segment_fixed_size 128
		.amdhsa_private_segment_fixed_size 0
		.amdhsa_kernarg_size 64
		.amdhsa_user_sgpr_count 6
		.amdhsa_user_sgpr_private_segment_buffer 1
		.amdhsa_user_sgpr_dispatch_ptr 0
		.amdhsa_user_sgpr_queue_ptr 0
		.amdhsa_user_sgpr_kernarg_segment_ptr 1
		.amdhsa_user_sgpr_dispatch_id 0
		.amdhsa_user_sgpr_flat_scratch_init 0
		.amdhsa_user_sgpr_private_segment_size 0
		.amdhsa_uses_dynamic_stack 0
		.amdhsa_system_sgpr_private_segment_wavefront_offset 0
		.amdhsa_system_sgpr_workgroup_id_x 1
		.amdhsa_system_sgpr_workgroup_id_y 0
		.amdhsa_system_sgpr_workgroup_id_z 0
		.amdhsa_system_sgpr_workgroup_info 0
		.amdhsa_system_vgpr_workitem_id 0
		.amdhsa_next_free_vgpr 16
		.amdhsa_next_free_sgpr 30
		.amdhsa_reserve_vcc 1
		.amdhsa_reserve_flat_scratch 0
		.amdhsa_float_round_mode_32 0
		.amdhsa_float_round_mode_16_64 0
		.amdhsa_float_denorm_mode_32 3
		.amdhsa_float_denorm_mode_16_64 3
		.amdhsa_dx10_clamp 1
		.amdhsa_ieee_mode 1
		.amdhsa_fp16_overflow 0
		.amdhsa_exception_fp_ieee_invalid_op 0
		.amdhsa_exception_fp_denorm_src 0
		.amdhsa_exception_fp_ieee_div_zero 0
		.amdhsa_exception_fp_ieee_overflow 0
		.amdhsa_exception_fp_ieee_underflow 0
		.amdhsa_exception_fp_ieee_inexact 0
		.amdhsa_exception_int_div_zero 0
	.end_amdhsa_kernel
	.section	.text._ZN9rocsparseL27csrsv_analysis_lower_kernelILj1024ELj32ELb0EilEEvT3_PKT2_PKS1_PS2_PiS7_PS1_21rocsparse_index_base_20rocsparse_diag_type_,"axG",@progbits,_ZN9rocsparseL27csrsv_analysis_lower_kernelILj1024ELj32ELb0EilEEvT3_PKT2_PKS1_PS2_PiS7_PS1_21rocsparse_index_base_20rocsparse_diag_type_,comdat
.Lfunc_end21:
	.size	_ZN9rocsparseL27csrsv_analysis_lower_kernelILj1024ELj32ELb0EilEEvT3_PKT2_PKS1_PS2_PiS7_PS1_21rocsparse_index_base_20rocsparse_diag_type_, .Lfunc_end21-_ZN9rocsparseL27csrsv_analysis_lower_kernelILj1024ELj32ELb0EilEEvT3_PKT2_PKS1_PS2_PiS7_PS1_21rocsparse_index_base_20rocsparse_diag_type_
                                        ; -- End function
	.set _ZN9rocsparseL27csrsv_analysis_lower_kernelILj1024ELj32ELb0EilEEvT3_PKT2_PKS1_PS2_PiS7_PS1_21rocsparse_index_base_20rocsparse_diag_type_.num_vgpr, 16
	.set _ZN9rocsparseL27csrsv_analysis_lower_kernelILj1024ELj32ELb0EilEEvT3_PKT2_PKS1_PS2_PiS7_PS1_21rocsparse_index_base_20rocsparse_diag_type_.num_agpr, 0
	.set _ZN9rocsparseL27csrsv_analysis_lower_kernelILj1024ELj32ELb0EilEEvT3_PKT2_PKS1_PS2_PiS7_PS1_21rocsparse_index_base_20rocsparse_diag_type_.numbered_sgpr, 30
	.set _ZN9rocsparseL27csrsv_analysis_lower_kernelILj1024ELj32ELb0EilEEvT3_PKT2_PKS1_PS2_PiS7_PS1_21rocsparse_index_base_20rocsparse_diag_type_.num_named_barrier, 0
	.set _ZN9rocsparseL27csrsv_analysis_lower_kernelILj1024ELj32ELb0EilEEvT3_PKT2_PKS1_PS2_PiS7_PS1_21rocsparse_index_base_20rocsparse_diag_type_.private_seg_size, 0
	.set _ZN9rocsparseL27csrsv_analysis_lower_kernelILj1024ELj32ELb0EilEEvT3_PKT2_PKS1_PS2_PiS7_PS1_21rocsparse_index_base_20rocsparse_diag_type_.uses_vcc, 1
	.set _ZN9rocsparseL27csrsv_analysis_lower_kernelILj1024ELj32ELb0EilEEvT3_PKT2_PKS1_PS2_PiS7_PS1_21rocsparse_index_base_20rocsparse_diag_type_.uses_flat_scratch, 0
	.set _ZN9rocsparseL27csrsv_analysis_lower_kernelILj1024ELj32ELb0EilEEvT3_PKT2_PKS1_PS2_PiS7_PS1_21rocsparse_index_base_20rocsparse_diag_type_.has_dyn_sized_stack, 0
	.set _ZN9rocsparseL27csrsv_analysis_lower_kernelILj1024ELj32ELb0EilEEvT3_PKT2_PKS1_PS2_PiS7_PS1_21rocsparse_index_base_20rocsparse_diag_type_.has_recursion, 0
	.set _ZN9rocsparseL27csrsv_analysis_lower_kernelILj1024ELj32ELb0EilEEvT3_PKT2_PKS1_PS2_PiS7_PS1_21rocsparse_index_base_20rocsparse_diag_type_.has_indirect_call, 0
	.section	.AMDGPU.csdata,"",@progbits
; Kernel info:
; codeLenInByte = 1008
; TotalNumSgprs: 34
; NumVgprs: 16
; ScratchSize: 0
; MemoryBound: 0
; FloatMode: 240
; IeeeMode: 1
; LDSByteSize: 128 bytes/workgroup (compile time only)
; SGPRBlocks: 4
; VGPRBlocks: 3
; NumSGPRsForWavesPerEU: 34
; NumVGPRsForWavesPerEU: 16
; Occupancy: 10
; WaveLimiterHint : 1
; COMPUTE_PGM_RSRC2:SCRATCH_EN: 0
; COMPUTE_PGM_RSRC2:USER_SGPR: 6
; COMPUTE_PGM_RSRC2:TRAP_HANDLER: 0
; COMPUTE_PGM_RSRC2:TGID_X_EN: 1
; COMPUTE_PGM_RSRC2:TGID_Y_EN: 0
; COMPUTE_PGM_RSRC2:TGID_Z_EN: 0
; COMPUTE_PGM_RSRC2:TIDIG_COMP_CNT: 0
	.section	.text._ZN9rocsparseL27csrsv_analysis_upper_kernelILj1024ELj64ELb0EilEEvT3_PKT2_PKS1_PS2_PiS7_PS1_21rocsparse_index_base_20rocsparse_diag_type_,"axG",@progbits,_ZN9rocsparseL27csrsv_analysis_upper_kernelILj1024ELj64ELb0EilEEvT3_PKT2_PKS1_PS2_PiS7_PS1_21rocsparse_index_base_20rocsparse_diag_type_,comdat
	.globl	_ZN9rocsparseL27csrsv_analysis_upper_kernelILj1024ELj64ELb0EilEEvT3_PKT2_PKS1_PS2_PiS7_PS1_21rocsparse_index_base_20rocsparse_diag_type_ ; -- Begin function _ZN9rocsparseL27csrsv_analysis_upper_kernelILj1024ELj64ELb0EilEEvT3_PKT2_PKS1_PS2_PiS7_PS1_21rocsparse_index_base_20rocsparse_diag_type_
	.p2align	8
	.type	_ZN9rocsparseL27csrsv_analysis_upper_kernelILj1024ELj64ELb0EilEEvT3_PKT2_PKS1_PS2_PiS7_PS1_21rocsparse_index_base_20rocsparse_diag_type_,@function
_ZN9rocsparseL27csrsv_analysis_upper_kernelILj1024ELj64ELb0EilEEvT3_PKT2_PKS1_PS2_PiS7_PS1_21rocsparse_index_base_20rocsparse_diag_type_: ; @_ZN9rocsparseL27csrsv_analysis_upper_kernelILj1024ELj64ELb0EilEEvT3_PKT2_PKS1_PS2_PiS7_PS1_21rocsparse_index_base_20rocsparse_diag_type_
; %bb.0:
	s_load_dwordx2 s[12:13], s[4:5], 0x0
	s_lshl_b32 s14, s6, 4
	s_mov_b32 s15, 0
	s_not_b64 s[0:1], s[14:15]
	v_lshrrev_b32_e32 v3, 6, v0
	s_waitcnt lgkmcnt(0)
	s_add_u32 s18, s12, s0
	s_addc_u32 s19, s13, s1
	v_mov_b32_e32 v2, s19
	v_sub_co_u32_e32 v1, vcc, s18, v3
	v_subbrev_co_u32_e32 v2, vcc, 0, v2, vcc
	v_cmp_lt_i64_e32 vcc, -1, v[1:2]
	v_mov_b32_e32 v4, 0
	v_lshlrev_b32_e32 v10, 2, v3
	ds_write_b32 v10, v4
	s_waitcnt lgkmcnt(0)
	s_barrier
	s_and_saveexec_b64 s[0:1], vcc
	s_cbranch_execz .LBB22_33
; %bb.1:
	s_load_dwordx2 s[0:1], s[4:5], 0x8
	s_load_dwordx4 s[8:11], s[4:5], 0x18
	v_and_b32_e32 v0, 63, v0
	v_lshlrev_b64 v[3:4], 2, v[1:2]
	v_cmp_eq_u32_e32 vcc, 0, v0
	s_and_saveexec_b64 s[2:3], vcc
	s_cbranch_execz .LBB22_3
; %bb.2:
	s_waitcnt lgkmcnt(0)
	v_mov_b32_e32 v6, s9
	v_add_co_u32_e32 v5, vcc, s8, v3
	v_addc_co_u32_e32 v6, vcc, v6, v4, vcc
	v_mov_b32_e32 v7, -1
	global_store_dword v[5:6], v7, off
.LBB22_3:
	s_or_b64 exec, exec, s[2:3]
	s_waitcnt lgkmcnt(0)
	v_mov_b32_e32 v6, s1
	v_add_co_u32_e32 v5, vcc, s0, v3
	v_addc_co_u32_e32 v6, vcc, v6, v4, vcc
	global_load_dwordx2 v[5:6], v[5:6], off
	s_load_dwordx2 s[6:7], s[4:5], 0x38
	s_load_dwordx4 s[0:3], s[4:5], 0x28
	v_mov_b32_e32 v8, 0
	s_waitcnt vmcnt(0) lgkmcnt(0)
	v_subrev_u32_e32 v12, s6, v6
	v_subrev_u32_e32 v11, s6, v5
	v_xad_u32 v9, v0, -1, v12
	v_cmp_ge_i32_e32 vcc, v9, v11
	s_and_saveexec_b64 s[16:17], vcc
	s_cbranch_execz .LBB22_23
; %bb.4:
	s_load_dwordx2 s[4:5], s[4:5], 0x10
	v_mov_b32_e32 v8, 0
	s_mov_b64 s[20:21], 0
                                        ; implicit-def: $sgpr22_sgpr23
                                        ; implicit-def: $sgpr26_sgpr27
                                        ; implicit-def: $sgpr24_sgpr25
	s_waitcnt lgkmcnt(0)
	v_mov_b32_e32 v14, s5
	s_branch .LBB22_7
.LBB22_5:                               ;   in Loop: Header=BB22_7 Depth=1
	s_or_b64 exec, exec, s[30:31]
	v_subrev_u32_e32 v9, 64, v5
	v_cmp_lt_i32_e32 vcc, v9, v11
	s_andn2_b64 s[26:27], s[26:27], exec
	s_and_b64 s[30:31], vcc, exec
	v_max_i32_e32 v8, v15, v13
	s_andn2_b64 s[24:25], s[24:25], exec
	s_or_b64 s[26:27], s[26:27], s[30:31]
.LBB22_6:                               ;   in Loop: Header=BB22_7 Depth=1
	s_or_b64 exec, exec, s[28:29]
	s_and_b64 s[28:29], exec, s[26:27]
	s_or_b64 s[20:21], s[28:29], s[20:21]
	s_andn2_b64 s[22:23], s[22:23], exec
	s_and_b64 s[28:29], s[24:25], exec
	s_or_b64 s[22:23], s[22:23], s[28:29]
	s_andn2_b64 exec, exec, s[20:21]
	s_cbranch_execz .LBB22_12
.LBB22_7:                               ; =>This Loop Header: Depth=1
                                        ;     Child Loop BB22_10 Depth 2
	v_mov_b32_e32 v5, v9
	v_ashrrev_i32_e32 v6, 31, v5
	v_lshlrev_b64 v[6:7], 3, v[5:6]
	v_mov_b32_e32 v13, v8
	v_add_co_u32_e32 v6, vcc, s4, v6
	v_addc_co_u32_e32 v7, vcc, v14, v7, vcc
	global_load_dwordx2 v[6:7], v[6:7], off glc slc
	s_or_b64 s[24:25], s[24:25], exec
	s_or_b64 s[26:27], s[26:27], exec
                                        ; implicit-def: $vgpr9
                                        ; implicit-def: $vgpr8
	s_waitcnt vmcnt(0)
	v_subrev_co_u32_e32 v6, vcc, s6, v6
	v_subbrev_co_u32_e32 v7, vcc, 0, v7, vcc
	v_cmp_lt_i64_e32 vcc, s[18:19], v[6:7]
	s_and_saveexec_b64 s[28:29], vcc
	s_cbranch_execz .LBB22_6
; %bb.8:                                ;   in Loop: Header=BB22_7 Depth=1
	v_lshlrev_b64 v[8:9], 2, v[6:7]
	v_mov_b32_e32 v15, s11
	v_add_co_u32_e32 v8, vcc, s10, v8
	v_addc_co_u32_e32 v9, vcc, v15, v9, vcc
	global_load_dword v15, v[8:9], off glc
	s_waitcnt vmcnt(0)
	v_cmp_eq_u32_e32 vcc, 0, v15
	s_and_saveexec_b64 s[30:31], vcc
	s_cbranch_execz .LBB22_5
; %bb.9:                                ;   in Loop: Header=BB22_7 Depth=1
	s_mov_b64 s[34:35], 0
.LBB22_10:                              ;   Parent Loop BB22_7 Depth=1
                                        ; =>  This Inner Loop Header: Depth=2
	global_load_dword v15, v[8:9], off glc
	s_waitcnt vmcnt(0)
	v_cmp_ne_u32_e32 vcc, 0, v15
	s_or_b64 s[34:35], vcc, s[34:35]
	s_andn2_b64 exec, exec, s[34:35]
	s_cbranch_execnz .LBB22_10
; %bb.11:                               ;   in Loop: Header=BB22_7 Depth=1
	s_or_b64 exec, exec, s[34:35]
	s_branch .LBB22_5
.LBB22_12:
	s_or_b64 exec, exec, s[20:21]
	s_and_saveexec_b64 s[4:5], s[22:23]
	s_xor_b64 s[4:5], exec, s[4:5]
	s_cbranch_execz .LBB22_22
; %bb.13:
	v_cmp_eq_u64_e32 vcc, v[6:7], v[1:2]
	s_and_saveexec_b64 s[18:19], vcc
	s_cbranch_execz .LBB22_15
; %bb.14:
	v_mov_b32_e32 v9, s9
	v_add_co_u32_e32 v8, vcc, s8, v3
	v_addc_co_u32_e32 v9, vcc, v9, v4, vcc
	global_store_dword v[8:9], v5, off
.LBB22_15:
	s_or_b64 exec, exec, s[18:19]
	v_cmp_gt_i64_e32 vcc, v[6:7], v[1:2]
	s_and_saveexec_b64 s[18:19], vcc
	s_cbranch_execz .LBB22_21
; %bb.16:
	s_xor_b32 s13, s14, 0x3ffffff0
	s_add_i32 s12, s12, s13
	v_sub_u32_e32 v5, s12, v6
	v_lshlrev_b32_e32 v6, 2, v5
	ds_read_b32 v5, v6 offset:60
	s_waitcnt lgkmcnt(0)
	v_cmp_eq_u32_e32 vcc, 0, v5
	s_and_saveexec_b64 s[12:13], vcc
	s_cbranch_execz .LBB22_20
; %bb.17:
	s_mov_b64 s[14:15], 0
.LBB22_18:                              ; =>This Inner Loop Header: Depth=1
	ds_read_b32 v5, v6 offset:60
	s_waitcnt lgkmcnt(0)
	v_cmp_ne_u32_e32 vcc, 0, v5
	s_or_b64 s[14:15], vcc, s[14:15]
	s_andn2_b64 exec, exec, s[14:15]
	s_cbranch_execnz .LBB22_18
; %bb.19:
	s_or_b64 exec, exec, s[14:15]
.LBB22_20:
	s_or_b64 exec, exec, s[12:13]
	v_max_i32_e32 v13, v5, v13
.LBB22_21:
	s_or_b64 exec, exec, s[18:19]
	v_mov_b32_e32 v8, v13
.LBB22_22:
	s_or_b64 exec, exec, s[4:5]
.LBB22_23:
	s_or_b64 exec, exec, s[16:17]
	v_mov_b32_dpp v5, v8 row_shr:1 row_mask:0xf bank_mask:0xf
	v_max_i32_e32 v5, v8, v5
	v_cmp_eq_u32_e32 vcc, 63, v0
	s_nop 0
	v_mov_b32_dpp v6, v5 row_shr:2 row_mask:0xf bank_mask:0xf
	v_max_i32_e32 v5, v5, v6
	s_nop 1
	v_mov_b32_dpp v6, v5 row_shr:4 row_mask:0xf bank_mask:0xe
	v_max_i32_e32 v5, v5, v6
	;; [unrolled: 3-line block ×3, first 2 shown]
	s_nop 1
	v_mov_b32_dpp v6, v5 row_bcast:15 row_mask:0xa bank_mask:0xf
	v_max_i32_e32 v5, v5, v6
	s_nop 1
	v_mov_b32_dpp v6, v5 row_bcast:31 row_mask:0xc bank_mask:0xf
	s_and_b64 exec, exec, vcc
	s_cbranch_execz .LBB22_33
; %bb.24:
	v_max_i32_e32 v0, v5, v6
	v_mov_b32_e32 v6, s11
	v_add_co_u32_e32 v5, vcc, s10, v3
	v_add_u32_e32 v0, 1, v0
	v_addc_co_u32_e32 v6, vcc, v6, v4, vcc
	s_mov_b64 s[4:5], exec
	ds_write_b32 v10, v0
	global_store_dword v[5:6], v0, off
	v_sub_u32_e32 v0, v12, v11
	s_brev_b32 s10, 1
.LBB22_25:                              ; =>This Inner Loop Header: Depth=1
	s_ff1_i32_b64 s11, s[4:5]
	v_readlane_b32 s14, v0, s11
	s_lshl_b64 s[12:13], 1, s11
	s_max_i32 s10, s10, s14
	s_andn2_b64 s[4:5], s[4:5], s[12:13]
	s_cmp_lg_u64 s[4:5], 0
	s_cbranch_scc1 .LBB22_25
; %bb.26:
	v_mbcnt_lo_u32_b32 v0, exec_lo, 0
	v_mbcnt_hi_u32_b32 v0, exec_hi, v0
	v_cmp_eq_u32_e32 vcc, 0, v0
	s_and_saveexec_b64 s[4:5], vcc
	s_xor_b64 s[4:5], exec, s[4:5]
	s_cbranch_execz .LBB22_28
; %bb.27:
	v_mov_b32_e32 v0, 0
	v_mov_b32_e32 v5, s10
	global_atomic_smax v0, v5, s[0:1]
.LBB22_28:
	s_or_b64 exec, exec, s[4:5]
	v_mov_b32_e32 v0, s9
	v_add_co_u32_e32 v3, vcc, s8, v3
	v_addc_co_u32_e32 v4, vcc, v0, v4, vcc
	global_load_dword v0, v[3:4], off
	s_cmp_eq_u32 s7, 0
	s_cselect_b64 s[0:1], -1, 0
	s_waitcnt vmcnt(0)
	v_cmp_eq_u32_e32 vcc, -1, v0
	s_and_b64 s[0:1], s[0:1], vcc
	s_and_b64 exec, exec, s[0:1]
	s_cbranch_execz .LBB22_33
; %bb.29:
	v_add_co_u32_e32 v0, vcc, s6, v1
	s_mov_b64 s[4:5], exec
	v_addc_co_u32_e32 v1, vcc, 0, v2, vcc
	s_mov_b64 s[0:1], -1
.LBB22_30:                              ; =>This Inner Loop Header: Depth=1
	s_ff1_i32_b64 s8, s[4:5]
	v_readlane_b32 s9, v1, s8
	v_readlane_b32 s10, v0, s8
	v_mov_b32_e32 v2, s10
	v_mov_b32_e32 v3, s9
	v_cmp_lt_u64_e32 vcc, s[0:1], v[2:3]
	s_and_b64 s[6:7], vcc, exec
	s_cselect_b32 s1, s1, s9
	s_cselect_b32 s0, s0, s10
	s_lshl_b64 s[6:7], 1, s8
	s_andn2_b64 s[4:5], s[4:5], s[6:7]
	s_cmp_lg_u64 s[4:5], 0
	s_cbranch_scc1 .LBB22_30
; %bb.31:
	v_mbcnt_lo_u32_b32 v0, exec_lo, 0
	v_mbcnt_hi_u32_b32 v0, exec_hi, v0
	v_cmp_eq_u32_e32 vcc, 0, v0
	s_and_saveexec_b64 s[4:5], vcc
	s_xor_b64 s[4:5], exec, s[4:5]
	s_cbranch_execz .LBB22_33
; %bb.32:
	v_mov_b32_e32 v0, s0
	v_mov_b32_e32 v2, 0
	;; [unrolled: 1-line block ×3, first 2 shown]
	global_atomic_umin_x2 v2, v[0:1], s[2:3]
.LBB22_33:
	s_endpgm
	.section	.rodata,"a",@progbits
	.p2align	6, 0x0
	.amdhsa_kernel _ZN9rocsparseL27csrsv_analysis_upper_kernelILj1024ELj64ELb0EilEEvT3_PKT2_PKS1_PS2_PiS7_PS1_21rocsparse_index_base_20rocsparse_diag_type_
		.amdhsa_group_segment_fixed_size 64
		.amdhsa_private_segment_fixed_size 0
		.amdhsa_kernarg_size 64
		.amdhsa_user_sgpr_count 6
		.amdhsa_user_sgpr_private_segment_buffer 1
		.amdhsa_user_sgpr_dispatch_ptr 0
		.amdhsa_user_sgpr_queue_ptr 0
		.amdhsa_user_sgpr_kernarg_segment_ptr 1
		.amdhsa_user_sgpr_dispatch_id 0
		.amdhsa_user_sgpr_flat_scratch_init 0
		.amdhsa_user_sgpr_private_segment_size 0
		.amdhsa_uses_dynamic_stack 0
		.amdhsa_system_sgpr_private_segment_wavefront_offset 0
		.amdhsa_system_sgpr_workgroup_id_x 1
		.amdhsa_system_sgpr_workgroup_id_y 0
		.amdhsa_system_sgpr_workgroup_id_z 0
		.amdhsa_system_sgpr_workgroup_info 0
		.amdhsa_system_vgpr_workitem_id 0
		.amdhsa_next_free_vgpr 16
		.amdhsa_next_free_sgpr 36
		.amdhsa_reserve_vcc 1
		.amdhsa_reserve_flat_scratch 0
		.amdhsa_float_round_mode_32 0
		.amdhsa_float_round_mode_16_64 0
		.amdhsa_float_denorm_mode_32 3
		.amdhsa_float_denorm_mode_16_64 3
		.amdhsa_dx10_clamp 1
		.amdhsa_ieee_mode 1
		.amdhsa_fp16_overflow 0
		.amdhsa_exception_fp_ieee_invalid_op 0
		.amdhsa_exception_fp_denorm_src 0
		.amdhsa_exception_fp_ieee_div_zero 0
		.amdhsa_exception_fp_ieee_overflow 0
		.amdhsa_exception_fp_ieee_underflow 0
		.amdhsa_exception_fp_ieee_inexact 0
		.amdhsa_exception_int_div_zero 0
	.end_amdhsa_kernel
	.section	.text._ZN9rocsparseL27csrsv_analysis_upper_kernelILj1024ELj64ELb0EilEEvT3_PKT2_PKS1_PS2_PiS7_PS1_21rocsparse_index_base_20rocsparse_diag_type_,"axG",@progbits,_ZN9rocsparseL27csrsv_analysis_upper_kernelILj1024ELj64ELb0EilEEvT3_PKT2_PKS1_PS2_PiS7_PS1_21rocsparse_index_base_20rocsparse_diag_type_,comdat
.Lfunc_end22:
	.size	_ZN9rocsparseL27csrsv_analysis_upper_kernelILj1024ELj64ELb0EilEEvT3_PKT2_PKS1_PS2_PiS7_PS1_21rocsparse_index_base_20rocsparse_diag_type_, .Lfunc_end22-_ZN9rocsparseL27csrsv_analysis_upper_kernelILj1024ELj64ELb0EilEEvT3_PKT2_PKS1_PS2_PiS7_PS1_21rocsparse_index_base_20rocsparse_diag_type_
                                        ; -- End function
	.set _ZN9rocsparseL27csrsv_analysis_upper_kernelILj1024ELj64ELb0EilEEvT3_PKT2_PKS1_PS2_PiS7_PS1_21rocsparse_index_base_20rocsparse_diag_type_.num_vgpr, 16
	.set _ZN9rocsparseL27csrsv_analysis_upper_kernelILj1024ELj64ELb0EilEEvT3_PKT2_PKS1_PS2_PiS7_PS1_21rocsparse_index_base_20rocsparse_diag_type_.num_agpr, 0
	.set _ZN9rocsparseL27csrsv_analysis_upper_kernelILj1024ELj64ELb0EilEEvT3_PKT2_PKS1_PS2_PiS7_PS1_21rocsparse_index_base_20rocsparse_diag_type_.numbered_sgpr, 36
	.set _ZN9rocsparseL27csrsv_analysis_upper_kernelILj1024ELj64ELb0EilEEvT3_PKT2_PKS1_PS2_PiS7_PS1_21rocsparse_index_base_20rocsparse_diag_type_.num_named_barrier, 0
	.set _ZN9rocsparseL27csrsv_analysis_upper_kernelILj1024ELj64ELb0EilEEvT3_PKT2_PKS1_PS2_PiS7_PS1_21rocsparse_index_base_20rocsparse_diag_type_.private_seg_size, 0
	.set _ZN9rocsparseL27csrsv_analysis_upper_kernelILj1024ELj64ELb0EilEEvT3_PKT2_PKS1_PS2_PiS7_PS1_21rocsparse_index_base_20rocsparse_diag_type_.uses_vcc, 1
	.set _ZN9rocsparseL27csrsv_analysis_upper_kernelILj1024ELj64ELb0EilEEvT3_PKT2_PKS1_PS2_PiS7_PS1_21rocsparse_index_base_20rocsparse_diag_type_.uses_flat_scratch, 0
	.set _ZN9rocsparseL27csrsv_analysis_upper_kernelILj1024ELj64ELb0EilEEvT3_PKT2_PKS1_PS2_PiS7_PS1_21rocsparse_index_base_20rocsparse_diag_type_.has_dyn_sized_stack, 0
	.set _ZN9rocsparseL27csrsv_analysis_upper_kernelILj1024ELj64ELb0EilEEvT3_PKT2_PKS1_PS2_PiS7_PS1_21rocsparse_index_base_20rocsparse_diag_type_.has_recursion, 0
	.set _ZN9rocsparseL27csrsv_analysis_upper_kernelILj1024ELj64ELb0EilEEvT3_PKT2_PKS1_PS2_PiS7_PS1_21rocsparse_index_base_20rocsparse_diag_type_.has_indirect_call, 0
	.section	.AMDGPU.csdata,"",@progbits
; Kernel info:
; codeLenInByte = 1056
; TotalNumSgprs: 40
; NumVgprs: 16
; ScratchSize: 0
; MemoryBound: 0
; FloatMode: 240
; IeeeMode: 1
; LDSByteSize: 64 bytes/workgroup (compile time only)
; SGPRBlocks: 4
; VGPRBlocks: 3
; NumSGPRsForWavesPerEU: 40
; NumVGPRsForWavesPerEU: 16
; Occupancy: 10
; WaveLimiterHint : 1
; COMPUTE_PGM_RSRC2:SCRATCH_EN: 0
; COMPUTE_PGM_RSRC2:USER_SGPR: 6
; COMPUTE_PGM_RSRC2:TRAP_HANDLER: 0
; COMPUTE_PGM_RSRC2:TGID_X_EN: 1
; COMPUTE_PGM_RSRC2:TGID_Y_EN: 0
; COMPUTE_PGM_RSRC2:TGID_Z_EN: 0
; COMPUTE_PGM_RSRC2:TIDIG_COMP_CNT: 0
	.section	.text._ZN9rocsparseL27csrsv_analysis_lower_kernelILj1024ELj64ELb0EilEEvT3_PKT2_PKS1_PS2_PiS7_PS1_21rocsparse_index_base_20rocsparse_diag_type_,"axG",@progbits,_ZN9rocsparseL27csrsv_analysis_lower_kernelILj1024ELj64ELb0EilEEvT3_PKT2_PKS1_PS2_PiS7_PS1_21rocsparse_index_base_20rocsparse_diag_type_,comdat
	.globl	_ZN9rocsparseL27csrsv_analysis_lower_kernelILj1024ELj64ELb0EilEEvT3_PKT2_PKS1_PS2_PiS7_PS1_21rocsparse_index_base_20rocsparse_diag_type_ ; -- Begin function _ZN9rocsparseL27csrsv_analysis_lower_kernelILj1024ELj64ELb0EilEEvT3_PKT2_PKS1_PS2_PiS7_PS1_21rocsparse_index_base_20rocsparse_diag_type_
	.p2align	8
	.type	_ZN9rocsparseL27csrsv_analysis_lower_kernelILj1024ELj64ELb0EilEEvT3_PKT2_PKS1_PS2_PiS7_PS1_21rocsparse_index_base_20rocsparse_diag_type_,@function
_ZN9rocsparseL27csrsv_analysis_lower_kernelILj1024ELj64ELb0EilEEvT3_PKT2_PKS1_PS2_PiS7_PS1_21rocsparse_index_base_20rocsparse_diag_type_: ; @_ZN9rocsparseL27csrsv_analysis_lower_kernelILj1024ELj64ELb0EilEEvT3_PKT2_PKS1_PS2_PiS7_PS1_21rocsparse_index_base_20rocsparse_diag_type_
; %bb.0:
	s_load_dwordx2 s[0:1], s[4:5], 0x0
	v_lshrrev_b32_e32 v3, 6, v0
	s_lshl_b32 s12, s6, 4
	v_or_b32_e32 v1, s12, v3
	v_mov_b32_e32 v2, 0
	s_waitcnt lgkmcnt(0)
	v_cmp_gt_i64_e32 vcc, s[0:1], v[1:2]
	v_lshlrev_b32_e32 v10, 2, v3
	ds_write_b32 v10, v2
	s_waitcnt lgkmcnt(0)
	s_barrier
	s_and_saveexec_b64 s[0:1], vcc
	s_cbranch_execz .LBB23_33
; %bb.1:
	s_load_dwordx2 s[0:1], s[4:5], 0x8
	s_load_dwordx4 s[8:11], s[4:5], 0x18
	v_and_b32_e32 v0, 63, v0
	v_lshlrev_b64 v[3:4], 2, v[1:2]
	v_cmp_eq_u32_e32 vcc, 0, v0
	s_and_saveexec_b64 s[2:3], vcc
	s_cbranch_execz .LBB23_3
; %bb.2:
	s_waitcnt lgkmcnt(0)
	v_mov_b32_e32 v6, s9
	v_add_co_u32_e32 v5, vcc, s8, v3
	v_addc_co_u32_e32 v6, vcc, v6, v4, vcc
	v_mov_b32_e32 v7, -1
	global_store_dword v[5:6], v7, off
.LBB23_3:
	s_or_b64 exec, exec, s[2:3]
	s_waitcnt lgkmcnt(0)
	v_mov_b32_e32 v6, s1
	v_add_co_u32_e32 v5, vcc, s0, v3
	v_addc_co_u32_e32 v6, vcc, v6, v4, vcc
	global_load_dwordx2 v[5:6], v[5:6], off
	s_load_dwordx2 s[6:7], s[4:5], 0x38
	s_load_dwordx4 s[0:3], s[4:5], 0x28
	v_mov_b32_e32 v8, 0
	s_waitcnt vmcnt(0) lgkmcnt(0)
	v_subrev_u32_e32 v11, s6, v5
	v_subrev_u32_e32 v12, s6, v6
	v_add_u32_e32 v9, v11, v0
	v_cmp_lt_i32_e32 vcc, v9, v12
	s_and_saveexec_b64 s[14:15], vcc
	s_cbranch_execz .LBB23_23
; %bb.4:
	s_load_dwordx2 s[4:5], s[4:5], 0x10
	s_mov_b32 s13, 0
	v_mov_b32_e32 v8, 0
	s_mov_b64 s[16:17], 0
                                        ; implicit-def: $sgpr18_sgpr19
                                        ; implicit-def: $sgpr22_sgpr23
                                        ; implicit-def: $sgpr20_sgpr21
	s_waitcnt lgkmcnt(0)
	v_mov_b32_e32 v14, s5
	s_branch .LBB23_7
.LBB23_5:                               ;   in Loop: Header=BB23_7 Depth=1
	s_or_b64 exec, exec, s[26:27]
	v_add_u32_e32 v9, 64, v5
	v_cmp_ge_i32_e32 vcc, v9, v12
	s_andn2_b64 s[22:23], s[22:23], exec
	s_and_b64 s[26:27], vcc, exec
	v_max_i32_e32 v8, v15, v13
	s_andn2_b64 s[20:21], s[20:21], exec
	s_or_b64 s[22:23], s[22:23], s[26:27]
.LBB23_6:                               ;   in Loop: Header=BB23_7 Depth=1
	s_or_b64 exec, exec, s[24:25]
	s_and_b64 s[24:25], exec, s[22:23]
	s_or_b64 s[16:17], s[24:25], s[16:17]
	s_andn2_b64 s[18:19], s[18:19], exec
	s_and_b64 s[24:25], s[20:21], exec
	s_or_b64 s[18:19], s[18:19], s[24:25]
	s_andn2_b64 exec, exec, s[16:17]
	s_cbranch_execz .LBB23_12
.LBB23_7:                               ; =>This Loop Header: Depth=1
                                        ;     Child Loop BB23_10 Depth 2
	v_mov_b32_e32 v5, v9
	v_ashrrev_i32_e32 v6, 31, v5
	v_lshlrev_b64 v[6:7], 3, v[5:6]
	v_mov_b32_e32 v13, v8
	v_add_co_u32_e32 v6, vcc, s4, v6
	v_addc_co_u32_e32 v7, vcc, v14, v7, vcc
	global_load_dwordx2 v[6:7], v[6:7], off glc slc
	s_or_b64 s[20:21], s[20:21], exec
	s_or_b64 s[22:23], s[22:23], exec
                                        ; implicit-def: $vgpr9
                                        ; implicit-def: $vgpr8
	s_waitcnt vmcnt(0)
	v_subrev_co_u32_e32 v6, vcc, s6, v6
	v_subbrev_co_u32_e32 v7, vcc, 0, v7, vcc
	v_cmp_gt_i64_e32 vcc, s[12:13], v[6:7]
	s_and_saveexec_b64 s[24:25], vcc
	s_cbranch_execz .LBB23_6
; %bb.8:                                ;   in Loop: Header=BB23_7 Depth=1
	v_lshlrev_b64 v[8:9], 2, v[6:7]
	v_mov_b32_e32 v15, s11
	v_add_co_u32_e32 v8, vcc, s10, v8
	v_addc_co_u32_e32 v9, vcc, v15, v9, vcc
	global_load_dword v15, v[8:9], off glc
	s_waitcnt vmcnt(0)
	v_cmp_eq_u32_e32 vcc, 0, v15
	s_and_saveexec_b64 s[26:27], vcc
	s_cbranch_execz .LBB23_5
; %bb.9:                                ;   in Loop: Header=BB23_7 Depth=1
	s_mov_b64 s[28:29], 0
.LBB23_10:                              ;   Parent Loop BB23_7 Depth=1
                                        ; =>  This Inner Loop Header: Depth=2
	global_load_dword v15, v[8:9], off glc
	s_waitcnt vmcnt(0)
	v_cmp_ne_u32_e32 vcc, 0, v15
	s_or_b64 s[28:29], vcc, s[28:29]
	s_andn2_b64 exec, exec, s[28:29]
	s_cbranch_execnz .LBB23_10
; %bb.11:                               ;   in Loop: Header=BB23_7 Depth=1
	s_or_b64 exec, exec, s[28:29]
	s_branch .LBB23_5
.LBB23_12:
	s_or_b64 exec, exec, s[16:17]
	s_and_saveexec_b64 s[4:5], s[18:19]
	s_xor_b64 s[4:5], exec, s[4:5]
	s_cbranch_execz .LBB23_22
; %bb.13:
	v_cmp_eq_u64_e32 vcc, v[6:7], v[1:2]
	s_and_saveexec_b64 s[16:17], vcc
	s_cbranch_execz .LBB23_15
; %bb.14:
	v_mov_b32_e32 v9, s9
	v_add_co_u32_e32 v8, vcc, s8, v3
	v_addc_co_u32_e32 v9, vcc, v9, v4, vcc
	global_store_dword v[8:9], v5, off
.LBB23_15:
	s_or_b64 exec, exec, s[16:17]
	v_cmp_lt_i64_e32 vcc, v[6:7], v[1:2]
	s_and_saveexec_b64 s[16:17], vcc
	s_cbranch_execz .LBB23_21
; %bb.16:
	v_subrev_u32_e32 v2, s12, v6
	v_lshlrev_b32_e32 v5, 2, v2
	ds_read_b32 v2, v5
	s_waitcnt lgkmcnt(0)
	v_cmp_eq_u32_e32 vcc, 0, v2
	s_and_saveexec_b64 s[12:13], vcc
	s_cbranch_execz .LBB23_20
; %bb.17:
	s_mov_b64 s[18:19], 0
.LBB23_18:                              ; =>This Inner Loop Header: Depth=1
	ds_read_b32 v2, v5
	s_waitcnt lgkmcnt(0)
	v_cmp_ne_u32_e32 vcc, 0, v2
	s_or_b64 s[18:19], vcc, s[18:19]
	s_andn2_b64 exec, exec, s[18:19]
	s_cbranch_execnz .LBB23_18
; %bb.19:
	s_or_b64 exec, exec, s[18:19]
.LBB23_20:
	s_or_b64 exec, exec, s[12:13]
	v_max_i32_e32 v13, v2, v13
.LBB23_21:
	s_or_b64 exec, exec, s[16:17]
	v_mov_b32_e32 v8, v13
.LBB23_22:
	s_or_b64 exec, exec, s[4:5]
.LBB23_23:
	s_or_b64 exec, exec, s[14:15]
	v_mov_b32_dpp v2, v8 row_shr:1 row_mask:0xf bank_mask:0xf
	v_max_i32_e32 v2, v8, v2
	v_cmp_eq_u32_e32 vcc, 63, v0
	s_nop 0
	v_mov_b32_dpp v5, v2 row_shr:2 row_mask:0xf bank_mask:0xf
	v_max_i32_e32 v2, v2, v5
	s_nop 1
	v_mov_b32_dpp v5, v2 row_shr:4 row_mask:0xf bank_mask:0xe
	v_max_i32_e32 v2, v2, v5
	;; [unrolled: 3-line block ×3, first 2 shown]
	s_nop 1
	v_mov_b32_dpp v5, v2 row_bcast:15 row_mask:0xa bank_mask:0xf
	v_max_i32_e32 v2, v2, v5
	s_nop 1
	v_mov_b32_dpp v5, v2 row_bcast:31 row_mask:0xc bank_mask:0xf
	s_and_b64 exec, exec, vcc
	s_cbranch_execz .LBB23_33
; %bb.24:
	v_max_i32_e32 v0, v2, v5
	v_mov_b32_e32 v2, s11
	v_add_co_u32_e32 v5, vcc, s10, v3
	v_add_u32_e32 v0, 1, v0
	v_addc_co_u32_e32 v6, vcc, v2, v4, vcc
	s_mov_b64 s[4:5], exec
	ds_write_b32 v10, v0
	global_store_dword v[5:6], v0, off
	v_sub_u32_e32 v0, v12, v11
	s_brev_b32 s10, 1
.LBB23_25:                              ; =>This Inner Loop Header: Depth=1
	s_ff1_i32_b64 s11, s[4:5]
	v_readlane_b32 s14, v0, s11
	s_lshl_b64 s[12:13], 1, s11
	s_max_i32 s10, s10, s14
	s_andn2_b64 s[4:5], s[4:5], s[12:13]
	s_cmp_lg_u64 s[4:5], 0
	s_cbranch_scc1 .LBB23_25
; %bb.26:
	v_mbcnt_lo_u32_b32 v0, exec_lo, 0
	v_mbcnt_hi_u32_b32 v0, exec_hi, v0
	v_cmp_eq_u32_e32 vcc, 0, v0
	s_and_saveexec_b64 s[4:5], vcc
	s_xor_b64 s[4:5], exec, s[4:5]
	s_cbranch_execz .LBB23_28
; %bb.27:
	v_mov_b32_e32 v0, 0
	v_mov_b32_e32 v2, s10
	global_atomic_smax v0, v2, s[0:1]
.LBB23_28:
	s_or_b64 exec, exec, s[4:5]
	v_mov_b32_e32 v0, s9
	v_add_co_u32_e32 v2, vcc, s8, v3
	v_addc_co_u32_e32 v3, vcc, v0, v4, vcc
	global_load_dword v0, v[2:3], off
	s_cmp_eq_u32 s7, 0
	s_cselect_b64 s[0:1], -1, 0
	s_waitcnt vmcnt(0)
	v_cmp_eq_u32_e32 vcc, -1, v0
	s_and_b64 s[0:1], s[0:1], vcc
	s_and_b64 exec, exec, s[0:1]
	s_cbranch_execz .LBB23_33
; %bb.29:
	v_add_co_u32_e32 v0, vcc, s6, v1
	v_addc_co_u32_e64 v1, s[0:1], 0, 0, vcc
	s_mov_b64 s[4:5], exec
	s_mov_b64 s[0:1], -1
.LBB23_30:                              ; =>This Inner Loop Header: Depth=1
	s_ff1_i32_b64 s8, s[4:5]
	v_readlane_b32 s9, v1, s8
	v_readlane_b32 s10, v0, s8
	v_mov_b32_e32 v2, s10
	v_mov_b32_e32 v3, s9
	v_cmp_lt_u64_e32 vcc, s[0:1], v[2:3]
	s_and_b64 s[6:7], vcc, exec
	s_cselect_b32 s1, s1, s9
	s_cselect_b32 s0, s0, s10
	s_lshl_b64 s[6:7], 1, s8
	s_andn2_b64 s[4:5], s[4:5], s[6:7]
	s_cmp_lg_u64 s[4:5], 0
	s_cbranch_scc1 .LBB23_30
; %bb.31:
	v_mbcnt_lo_u32_b32 v0, exec_lo, 0
	v_mbcnt_hi_u32_b32 v0, exec_hi, v0
	v_cmp_eq_u32_e32 vcc, 0, v0
	s_and_saveexec_b64 s[4:5], vcc
	s_xor_b64 s[4:5], exec, s[4:5]
	s_cbranch_execz .LBB23_33
; %bb.32:
	v_mov_b32_e32 v0, s0
	v_mov_b32_e32 v2, 0
	;; [unrolled: 1-line block ×3, first 2 shown]
	global_atomic_umin_x2 v2, v[0:1], s[2:3]
.LBB23_33:
	s_endpgm
	.section	.rodata,"a",@progbits
	.p2align	6, 0x0
	.amdhsa_kernel _ZN9rocsparseL27csrsv_analysis_lower_kernelILj1024ELj64ELb0EilEEvT3_PKT2_PKS1_PS2_PiS7_PS1_21rocsparse_index_base_20rocsparse_diag_type_
		.amdhsa_group_segment_fixed_size 64
		.amdhsa_private_segment_fixed_size 0
		.amdhsa_kernarg_size 64
		.amdhsa_user_sgpr_count 6
		.amdhsa_user_sgpr_private_segment_buffer 1
		.amdhsa_user_sgpr_dispatch_ptr 0
		.amdhsa_user_sgpr_queue_ptr 0
		.amdhsa_user_sgpr_kernarg_segment_ptr 1
		.amdhsa_user_sgpr_dispatch_id 0
		.amdhsa_user_sgpr_flat_scratch_init 0
		.amdhsa_user_sgpr_private_segment_size 0
		.amdhsa_uses_dynamic_stack 0
		.amdhsa_system_sgpr_private_segment_wavefront_offset 0
		.amdhsa_system_sgpr_workgroup_id_x 1
		.amdhsa_system_sgpr_workgroup_id_y 0
		.amdhsa_system_sgpr_workgroup_id_z 0
		.amdhsa_system_sgpr_workgroup_info 0
		.amdhsa_system_vgpr_workitem_id 0
		.amdhsa_next_free_vgpr 16
		.amdhsa_next_free_sgpr 30
		.amdhsa_reserve_vcc 1
		.amdhsa_reserve_flat_scratch 0
		.amdhsa_float_round_mode_32 0
		.amdhsa_float_round_mode_16_64 0
		.amdhsa_float_denorm_mode_32 3
		.amdhsa_float_denorm_mode_16_64 3
		.amdhsa_dx10_clamp 1
		.amdhsa_ieee_mode 1
		.amdhsa_fp16_overflow 0
		.amdhsa_exception_fp_ieee_invalid_op 0
		.amdhsa_exception_fp_denorm_src 0
		.amdhsa_exception_fp_ieee_div_zero 0
		.amdhsa_exception_fp_ieee_overflow 0
		.amdhsa_exception_fp_ieee_underflow 0
		.amdhsa_exception_fp_ieee_inexact 0
		.amdhsa_exception_int_div_zero 0
	.end_amdhsa_kernel
	.section	.text._ZN9rocsparseL27csrsv_analysis_lower_kernelILj1024ELj64ELb0EilEEvT3_PKT2_PKS1_PS2_PiS7_PS1_21rocsparse_index_base_20rocsparse_diag_type_,"axG",@progbits,_ZN9rocsparseL27csrsv_analysis_lower_kernelILj1024ELj64ELb0EilEEvT3_PKT2_PKS1_PS2_PiS7_PS1_21rocsparse_index_base_20rocsparse_diag_type_,comdat
.Lfunc_end23:
	.size	_ZN9rocsparseL27csrsv_analysis_lower_kernelILj1024ELj64ELb0EilEEvT3_PKT2_PKS1_PS2_PiS7_PS1_21rocsparse_index_base_20rocsparse_diag_type_, .Lfunc_end23-_ZN9rocsparseL27csrsv_analysis_lower_kernelILj1024ELj64ELb0EilEEvT3_PKT2_PKS1_PS2_PiS7_PS1_21rocsparse_index_base_20rocsparse_diag_type_
                                        ; -- End function
	.set _ZN9rocsparseL27csrsv_analysis_lower_kernelILj1024ELj64ELb0EilEEvT3_PKT2_PKS1_PS2_PiS7_PS1_21rocsparse_index_base_20rocsparse_diag_type_.num_vgpr, 16
	.set _ZN9rocsparseL27csrsv_analysis_lower_kernelILj1024ELj64ELb0EilEEvT3_PKT2_PKS1_PS2_PiS7_PS1_21rocsparse_index_base_20rocsparse_diag_type_.num_agpr, 0
	.set _ZN9rocsparseL27csrsv_analysis_lower_kernelILj1024ELj64ELb0EilEEvT3_PKT2_PKS1_PS2_PiS7_PS1_21rocsparse_index_base_20rocsparse_diag_type_.numbered_sgpr, 30
	.set _ZN9rocsparseL27csrsv_analysis_lower_kernelILj1024ELj64ELb0EilEEvT3_PKT2_PKS1_PS2_PiS7_PS1_21rocsparse_index_base_20rocsparse_diag_type_.num_named_barrier, 0
	.set _ZN9rocsparseL27csrsv_analysis_lower_kernelILj1024ELj64ELb0EilEEvT3_PKT2_PKS1_PS2_PiS7_PS1_21rocsparse_index_base_20rocsparse_diag_type_.private_seg_size, 0
	.set _ZN9rocsparseL27csrsv_analysis_lower_kernelILj1024ELj64ELb0EilEEvT3_PKT2_PKS1_PS2_PiS7_PS1_21rocsparse_index_base_20rocsparse_diag_type_.uses_vcc, 1
	.set _ZN9rocsparseL27csrsv_analysis_lower_kernelILj1024ELj64ELb0EilEEvT3_PKT2_PKS1_PS2_PiS7_PS1_21rocsparse_index_base_20rocsparse_diag_type_.uses_flat_scratch, 0
	.set _ZN9rocsparseL27csrsv_analysis_lower_kernelILj1024ELj64ELb0EilEEvT3_PKT2_PKS1_PS2_PiS7_PS1_21rocsparse_index_base_20rocsparse_diag_type_.has_dyn_sized_stack, 0
	.set _ZN9rocsparseL27csrsv_analysis_lower_kernelILj1024ELj64ELb0EilEEvT3_PKT2_PKS1_PS2_PiS7_PS1_21rocsparse_index_base_20rocsparse_diag_type_.has_recursion, 0
	.set _ZN9rocsparseL27csrsv_analysis_lower_kernelILj1024ELj64ELb0EilEEvT3_PKT2_PKS1_PS2_PiS7_PS1_21rocsparse_index_base_20rocsparse_diag_type_.has_indirect_call, 0
	.section	.AMDGPU.csdata,"",@progbits
; Kernel info:
; codeLenInByte = 1024
; TotalNumSgprs: 34
; NumVgprs: 16
; ScratchSize: 0
; MemoryBound: 0
; FloatMode: 240
; IeeeMode: 1
; LDSByteSize: 64 bytes/workgroup (compile time only)
; SGPRBlocks: 4
; VGPRBlocks: 3
; NumSGPRsForWavesPerEU: 34
; NumVGPRsForWavesPerEU: 16
; Occupancy: 10
; WaveLimiterHint : 1
; COMPUTE_PGM_RSRC2:SCRATCH_EN: 0
; COMPUTE_PGM_RSRC2:USER_SGPR: 6
; COMPUTE_PGM_RSRC2:TRAP_HANDLER: 0
; COMPUTE_PGM_RSRC2:TGID_X_EN: 1
; COMPUTE_PGM_RSRC2:TGID_Y_EN: 0
; COMPUTE_PGM_RSRC2:TGID_Z_EN: 0
; COMPUTE_PGM_RSRC2:TIDIG_COMP_CNT: 0
	.section	.AMDGPU.gpr_maximums,"",@progbits
	.set amdgpu.max_num_vgpr, 0
	.set amdgpu.max_num_agpr, 0
	.set amdgpu.max_num_sgpr, 0
	.section	.AMDGPU.csdata,"",@progbits
	.type	__hip_cuid_4c74a0c713986e48,@object ; @__hip_cuid_4c74a0c713986e48
	.section	.bss,"aw",@nobits
	.globl	__hip_cuid_4c74a0c713986e48
__hip_cuid_4c74a0c713986e48:
	.byte	0                               ; 0x0
	.size	__hip_cuid_4c74a0c713986e48, 1

	.ident	"AMD clang version 22.0.0git (https://github.com/RadeonOpenCompute/llvm-project roc-7.2.4 26084 f58b06dce1f9c15707c5f808fd002e18c2accf7e)"
	.section	".note.GNU-stack","",@progbits
	.addrsig
	.addrsig_sym __hip_cuid_4c74a0c713986e48
	.amdgpu_metadata
---
amdhsa.kernels:
  - .args:
      - .offset:         0
        .size:           4
        .value_kind:     by_value
      - .actual_access:  read_only
        .address_space:  global
        .offset:         8
        .size:           8
        .value_kind:     global_buffer
      - .actual_access:  read_only
        .address_space:  global
        .offset:         16
        .size:           8
        .value_kind:     global_buffer
      - .address_space:  global
        .offset:         24
        .size:           8
        .value_kind:     global_buffer
      - .address_space:  global
        .offset:         32
        .size:           8
        .value_kind:     global_buffer
      - .address_space:  global
        .offset:         40
        .size:           8
        .value_kind:     global_buffer
      - .address_space:  global
        .offset:         48
        .size:           8
        .value_kind:     global_buffer
      - .offset:         56
        .size:           4
        .value_kind:     by_value
      - .offset:         60
        .size:           4
        .value_kind:     by_value
    .group_segment_fixed_size: 64
    .kernarg_segment_align: 8
    .kernarg_segment_size: 64
    .language:       OpenCL C
    .language_version:
      - 2
      - 0
    .max_flat_workgroup_size: 1024
    .name:           _ZN9rocsparseL27csrsv_analysis_upper_kernelILj1024ELj64ELb1EiiEEvT3_PKT2_PKS1_PS2_PiS7_PS1_21rocsparse_index_base_20rocsparse_diag_type_
    .private_segment_fixed_size: 0
    .sgpr_count:     40
    .sgpr_spill_count: 0
    .symbol:         _ZN9rocsparseL27csrsv_analysis_upper_kernelILj1024ELj64ELb1EiiEEvT3_PKT2_PKS1_PS2_PiS7_PS1_21rocsparse_index_base_20rocsparse_diag_type_.kd
    .uniform_work_group_size: 1
    .uses_dynamic_stack: false
    .vgpr_count:     15
    .vgpr_spill_count: 0
    .wavefront_size: 64
  - .args:
      - .offset:         0
        .size:           4
        .value_kind:     by_value
      - .actual_access:  read_only
        .address_space:  global
        .offset:         8
        .size:           8
        .value_kind:     global_buffer
      - .actual_access:  read_only
        .address_space:  global
        .offset:         16
        .size:           8
        .value_kind:     global_buffer
      - .address_space:  global
        .offset:         24
        .size:           8
        .value_kind:     global_buffer
      - .address_space:  global
        .offset:         32
        .size:           8
        .value_kind:     global_buffer
      - .address_space:  global
        .offset:         40
        .size:           8
        .value_kind:     global_buffer
      - .address_space:  global
        .offset:         48
        .size:           8
        .value_kind:     global_buffer
      - .offset:         56
        .size:           4
        .value_kind:     by_value
      - .offset:         60
        .size:           4
        .value_kind:     by_value
    .group_segment_fixed_size: 64
    .kernarg_segment_align: 8
    .kernarg_segment_size: 64
    .language:       OpenCL C
    .language_version:
      - 2
      - 0
    .max_flat_workgroup_size: 1024
    .name:           _ZN9rocsparseL27csrsv_analysis_lower_kernelILj1024ELj64ELb1EiiEEvT3_PKT2_PKS1_PS2_PiS7_PS1_21rocsparse_index_base_20rocsparse_diag_type_
    .private_segment_fixed_size: 0
    .sgpr_count:     36
    .sgpr_spill_count: 0
    .symbol:         _ZN9rocsparseL27csrsv_analysis_lower_kernelILj1024ELj64ELb1EiiEEvT3_PKT2_PKS1_PS2_PiS7_PS1_21rocsparse_index_base_20rocsparse_diag_type_.kd
    .uniform_work_group_size: 1
    .uses_dynamic_stack: false
    .vgpr_count:     15
    .vgpr_spill_count: 0
    .wavefront_size: 64
  - .args:
      - .offset:         0
        .size:           4
        .value_kind:     by_value
      - .actual_access:  read_only
        .address_space:  global
        .offset:         8
        .size:           8
        .value_kind:     global_buffer
      - .actual_access:  read_only
        .address_space:  global
        .offset:         16
        .size:           8
        .value_kind:     global_buffer
      - .address_space:  global
        .offset:         24
        .size:           8
        .value_kind:     global_buffer
      - .address_space:  global
        .offset:         32
        .size:           8
        .value_kind:     global_buffer
      - .address_space:  global
        .offset:         40
        .size:           8
        .value_kind:     global_buffer
      - .address_space:  global
        .offset:         48
        .size:           8
        .value_kind:     global_buffer
      - .offset:         56
        .size:           4
        .value_kind:     by_value
      - .offset:         60
        .size:           4
        .value_kind:     by_value
    .group_segment_fixed_size: 128
    .kernarg_segment_align: 8
    .kernarg_segment_size: 64
    .language:       OpenCL C
    .language_version:
      - 2
      - 0
    .max_flat_workgroup_size: 1024
    .name:           _ZN9rocsparseL27csrsv_analysis_upper_kernelILj1024ELj32ELb0EiiEEvT3_PKT2_PKS1_PS2_PiS7_PS1_21rocsparse_index_base_20rocsparse_diag_type_
    .private_segment_fixed_size: 0
    .sgpr_count:     35
    .sgpr_spill_count: 0
    .symbol:         _ZN9rocsparseL27csrsv_analysis_upper_kernelILj1024ELj32ELb0EiiEEvT3_PKT2_PKS1_PS2_PiS7_PS1_21rocsparse_index_base_20rocsparse_diag_type_.kd
    .uniform_work_group_size: 1
    .uses_dynamic_stack: false
    .vgpr_count:     15
    .vgpr_spill_count: 0
    .wavefront_size: 64
  - .args:
      - .offset:         0
        .size:           4
        .value_kind:     by_value
      - .actual_access:  read_only
        .address_space:  global
        .offset:         8
        .size:           8
        .value_kind:     global_buffer
      - .actual_access:  read_only
        .address_space:  global
        .offset:         16
        .size:           8
        .value_kind:     global_buffer
      - .address_space:  global
        .offset:         24
        .size:           8
        .value_kind:     global_buffer
      - .address_space:  global
        .offset:         32
        .size:           8
        .value_kind:     global_buffer
      - .address_space:  global
        .offset:         40
        .size:           8
        .value_kind:     global_buffer
      - .address_space:  global
        .offset:         48
        .size:           8
        .value_kind:     global_buffer
      - .offset:         56
        .size:           4
        .value_kind:     by_value
      - .offset:         60
        .size:           4
        .value_kind:     by_value
    .group_segment_fixed_size: 128
    .kernarg_segment_align: 8
    .kernarg_segment_size: 64
    .language:       OpenCL C
    .language_version:
      - 2
      - 0
    .max_flat_workgroup_size: 1024
    .name:           _ZN9rocsparseL27csrsv_analysis_lower_kernelILj1024ELj32ELb0EiiEEvT3_PKT2_PKS1_PS2_PiS7_PS1_21rocsparse_index_base_20rocsparse_diag_type_
    .private_segment_fixed_size: 0
    .sgpr_count:     33
    .sgpr_spill_count: 0
    .symbol:         _ZN9rocsparseL27csrsv_analysis_lower_kernelILj1024ELj32ELb0EiiEEvT3_PKT2_PKS1_PS2_PiS7_PS1_21rocsparse_index_base_20rocsparse_diag_type_.kd
    .uniform_work_group_size: 1
    .uses_dynamic_stack: false
    .vgpr_count:     15
    .vgpr_spill_count: 0
    .wavefront_size: 64
  - .args:
      - .offset:         0
        .size:           4
        .value_kind:     by_value
      - .actual_access:  read_only
        .address_space:  global
        .offset:         8
        .size:           8
        .value_kind:     global_buffer
      - .actual_access:  read_only
        .address_space:  global
        .offset:         16
        .size:           8
        .value_kind:     global_buffer
      - .address_space:  global
        .offset:         24
        .size:           8
        .value_kind:     global_buffer
      - .address_space:  global
        .offset:         32
        .size:           8
        .value_kind:     global_buffer
      - .address_space:  global
        .offset:         40
        .size:           8
        .value_kind:     global_buffer
      - .address_space:  global
        .offset:         48
        .size:           8
        .value_kind:     global_buffer
      - .offset:         56
        .size:           4
        .value_kind:     by_value
      - .offset:         60
        .size:           4
        .value_kind:     by_value
    .group_segment_fixed_size: 64
    .kernarg_segment_align: 8
    .kernarg_segment_size: 64
    .language:       OpenCL C
    .language_version:
      - 2
      - 0
    .max_flat_workgroup_size: 1024
    .name:           _ZN9rocsparseL27csrsv_analysis_upper_kernelILj1024ELj64ELb0EiiEEvT3_PKT2_PKS1_PS2_PiS7_PS1_21rocsparse_index_base_20rocsparse_diag_type_
    .private_segment_fixed_size: 0
    .sgpr_count:     35
    .sgpr_spill_count: 0
    .symbol:         _ZN9rocsparseL27csrsv_analysis_upper_kernelILj1024ELj64ELb0EiiEEvT3_PKT2_PKS1_PS2_PiS7_PS1_21rocsparse_index_base_20rocsparse_diag_type_.kd
    .uniform_work_group_size: 1
    .uses_dynamic_stack: false
    .vgpr_count:     15
    .vgpr_spill_count: 0
    .wavefront_size: 64
  - .args:
      - .offset:         0
        .size:           4
        .value_kind:     by_value
      - .actual_access:  read_only
        .address_space:  global
        .offset:         8
        .size:           8
        .value_kind:     global_buffer
      - .actual_access:  read_only
        .address_space:  global
        .offset:         16
        .size:           8
        .value_kind:     global_buffer
      - .address_space:  global
        .offset:         24
        .size:           8
        .value_kind:     global_buffer
      - .address_space:  global
        .offset:         32
        .size:           8
        .value_kind:     global_buffer
      - .address_space:  global
        .offset:         40
        .size:           8
        .value_kind:     global_buffer
      - .address_space:  global
        .offset:         48
        .size:           8
        .value_kind:     global_buffer
      - .offset:         56
        .size:           4
        .value_kind:     by_value
      - .offset:         60
        .size:           4
        .value_kind:     by_value
    .group_segment_fixed_size: 64
    .kernarg_segment_align: 8
    .kernarg_segment_size: 64
    .language:       OpenCL C
    .language_version:
      - 2
      - 0
    .max_flat_workgroup_size: 1024
    .name:           _ZN9rocsparseL27csrsv_analysis_lower_kernelILj1024ELj64ELb0EiiEEvT3_PKT2_PKS1_PS2_PiS7_PS1_21rocsparse_index_base_20rocsparse_diag_type_
    .private_segment_fixed_size: 0
    .sgpr_count:     33
    .sgpr_spill_count: 0
    .symbol:         _ZN9rocsparseL27csrsv_analysis_lower_kernelILj1024ELj64ELb0EiiEEvT3_PKT2_PKS1_PS2_PiS7_PS1_21rocsparse_index_base_20rocsparse_diag_type_.kd
    .uniform_work_group_size: 1
    .uses_dynamic_stack: false
    .vgpr_count:     15
    .vgpr_spill_count: 0
    .wavefront_size: 64
  - .args:
      - .offset:         0
        .size:           4
        .value_kind:     by_value
      - .actual_access:  read_only
        .address_space:  global
        .offset:         8
        .size:           8
        .value_kind:     global_buffer
      - .actual_access:  read_only
        .address_space:  global
        .offset:         16
        .size:           8
        .value_kind:     global_buffer
      - .address_space:  global
        .offset:         24
        .size:           8
        .value_kind:     global_buffer
      - .address_space:  global
        .offset:         32
        .size:           8
        .value_kind:     global_buffer
      - .address_space:  global
        .offset:         40
        .size:           8
        .value_kind:     global_buffer
      - .address_space:  global
        .offset:         48
        .size:           8
        .value_kind:     global_buffer
      - .offset:         56
        .size:           4
        .value_kind:     by_value
      - .offset:         60
        .size:           4
        .value_kind:     by_value
    .group_segment_fixed_size: 64
    .kernarg_segment_align: 8
    .kernarg_segment_size: 64
    .language:       OpenCL C
    .language_version:
      - 2
      - 0
    .max_flat_workgroup_size: 1024
    .name:           _ZN9rocsparseL27csrsv_analysis_upper_kernelILj1024ELj64ELb1EliEEvT3_PKT2_PKS1_PS2_PiS7_PS1_21rocsparse_index_base_20rocsparse_diag_type_
    .private_segment_fixed_size: 0
    .sgpr_count:     40
    .sgpr_spill_count: 0
    .symbol:         _ZN9rocsparseL27csrsv_analysis_upper_kernelILj1024ELj64ELb1EliEEvT3_PKT2_PKS1_PS2_PiS7_PS1_21rocsparse_index_base_20rocsparse_diag_type_.kd
    .uniform_work_group_size: 1
    .uses_dynamic_stack: false
    .vgpr_count:     18
    .vgpr_spill_count: 0
    .wavefront_size: 64
  - .args:
      - .offset:         0
        .size:           4
        .value_kind:     by_value
      - .actual_access:  read_only
        .address_space:  global
        .offset:         8
        .size:           8
        .value_kind:     global_buffer
      - .actual_access:  read_only
        .address_space:  global
        .offset:         16
        .size:           8
        .value_kind:     global_buffer
      - .address_space:  global
        .offset:         24
        .size:           8
        .value_kind:     global_buffer
      - .address_space:  global
        .offset:         32
        .size:           8
        .value_kind:     global_buffer
      - .address_space:  global
        .offset:         40
        .size:           8
        .value_kind:     global_buffer
      - .address_space:  global
        .offset:         48
        .size:           8
        .value_kind:     global_buffer
      - .offset:         56
        .size:           4
        .value_kind:     by_value
      - .offset:         60
        .size:           4
        .value_kind:     by_value
    .group_segment_fixed_size: 64
    .kernarg_segment_align: 8
    .kernarg_segment_size: 64
    .language:       OpenCL C
    .language_version:
      - 2
      - 0
    .max_flat_workgroup_size: 1024
    .name:           _ZN9rocsparseL27csrsv_analysis_lower_kernelILj1024ELj64ELb1EliEEvT3_PKT2_PKS1_PS2_PiS7_PS1_21rocsparse_index_base_20rocsparse_diag_type_
    .private_segment_fixed_size: 0
    .sgpr_count:     36
    .sgpr_spill_count: 0
    .symbol:         _ZN9rocsparseL27csrsv_analysis_lower_kernelILj1024ELj64ELb1EliEEvT3_PKT2_PKS1_PS2_PiS7_PS1_21rocsparse_index_base_20rocsparse_diag_type_.kd
    .uniform_work_group_size: 1
    .uses_dynamic_stack: false
    .vgpr_count:     18
    .vgpr_spill_count: 0
    .wavefront_size: 64
  - .args:
      - .offset:         0
        .size:           4
        .value_kind:     by_value
      - .actual_access:  read_only
        .address_space:  global
        .offset:         8
        .size:           8
        .value_kind:     global_buffer
      - .actual_access:  read_only
        .address_space:  global
        .offset:         16
        .size:           8
        .value_kind:     global_buffer
      - .address_space:  global
        .offset:         24
        .size:           8
        .value_kind:     global_buffer
      - .address_space:  global
        .offset:         32
        .size:           8
        .value_kind:     global_buffer
      - .address_space:  global
        .offset:         40
        .size:           8
        .value_kind:     global_buffer
      - .address_space:  global
        .offset:         48
        .size:           8
        .value_kind:     global_buffer
      - .offset:         56
        .size:           4
        .value_kind:     by_value
      - .offset:         60
        .size:           4
        .value_kind:     by_value
    .group_segment_fixed_size: 128
    .kernarg_segment_align: 8
    .kernarg_segment_size: 64
    .language:       OpenCL C
    .language_version:
      - 2
      - 0
    .max_flat_workgroup_size: 1024
    .name:           _ZN9rocsparseL27csrsv_analysis_upper_kernelILj1024ELj32ELb0EliEEvT3_PKT2_PKS1_PS2_PiS7_PS1_21rocsparse_index_base_20rocsparse_diag_type_
    .private_segment_fixed_size: 0
    .sgpr_count:     35
    .sgpr_spill_count: 0
    .symbol:         _ZN9rocsparseL27csrsv_analysis_upper_kernelILj1024ELj32ELb0EliEEvT3_PKT2_PKS1_PS2_PiS7_PS1_21rocsparse_index_base_20rocsparse_diag_type_.kd
    .uniform_work_group_size: 1
    .uses_dynamic_stack: false
    .vgpr_count:     18
    .vgpr_spill_count: 0
    .wavefront_size: 64
  - .args:
      - .offset:         0
        .size:           4
        .value_kind:     by_value
      - .actual_access:  read_only
        .address_space:  global
        .offset:         8
        .size:           8
        .value_kind:     global_buffer
      - .actual_access:  read_only
        .address_space:  global
        .offset:         16
        .size:           8
        .value_kind:     global_buffer
      - .address_space:  global
        .offset:         24
        .size:           8
        .value_kind:     global_buffer
      - .address_space:  global
        .offset:         32
        .size:           8
        .value_kind:     global_buffer
      - .address_space:  global
        .offset:         40
        .size:           8
        .value_kind:     global_buffer
      - .address_space:  global
        .offset:         48
        .size:           8
        .value_kind:     global_buffer
      - .offset:         56
        .size:           4
        .value_kind:     by_value
      - .offset:         60
        .size:           4
        .value_kind:     by_value
    .group_segment_fixed_size: 128
    .kernarg_segment_align: 8
    .kernarg_segment_size: 64
    .language:       OpenCL C
    .language_version:
      - 2
      - 0
    .max_flat_workgroup_size: 1024
    .name:           _ZN9rocsparseL27csrsv_analysis_lower_kernelILj1024ELj32ELb0EliEEvT3_PKT2_PKS1_PS2_PiS7_PS1_21rocsparse_index_base_20rocsparse_diag_type_
    .private_segment_fixed_size: 0
    .sgpr_count:     33
    .sgpr_spill_count: 0
    .symbol:         _ZN9rocsparseL27csrsv_analysis_lower_kernelILj1024ELj32ELb0EliEEvT3_PKT2_PKS1_PS2_PiS7_PS1_21rocsparse_index_base_20rocsparse_diag_type_.kd
    .uniform_work_group_size: 1
    .uses_dynamic_stack: false
    .vgpr_count:     18
    .vgpr_spill_count: 0
    .wavefront_size: 64
  - .args:
      - .offset:         0
        .size:           4
        .value_kind:     by_value
      - .actual_access:  read_only
        .address_space:  global
        .offset:         8
        .size:           8
        .value_kind:     global_buffer
      - .actual_access:  read_only
        .address_space:  global
        .offset:         16
        .size:           8
        .value_kind:     global_buffer
      - .address_space:  global
        .offset:         24
        .size:           8
        .value_kind:     global_buffer
      - .address_space:  global
        .offset:         32
        .size:           8
        .value_kind:     global_buffer
      - .address_space:  global
        .offset:         40
        .size:           8
        .value_kind:     global_buffer
      - .address_space:  global
        .offset:         48
        .size:           8
        .value_kind:     global_buffer
      - .offset:         56
        .size:           4
        .value_kind:     by_value
      - .offset:         60
        .size:           4
        .value_kind:     by_value
    .group_segment_fixed_size: 64
    .kernarg_segment_align: 8
    .kernarg_segment_size: 64
    .language:       OpenCL C
    .language_version:
      - 2
      - 0
    .max_flat_workgroup_size: 1024
    .name:           _ZN9rocsparseL27csrsv_analysis_upper_kernelILj1024ELj64ELb0EliEEvT3_PKT2_PKS1_PS2_PiS7_PS1_21rocsparse_index_base_20rocsparse_diag_type_
    .private_segment_fixed_size: 0
    .sgpr_count:     35
    .sgpr_spill_count: 0
    .symbol:         _ZN9rocsparseL27csrsv_analysis_upper_kernelILj1024ELj64ELb0EliEEvT3_PKT2_PKS1_PS2_PiS7_PS1_21rocsparse_index_base_20rocsparse_diag_type_.kd
    .uniform_work_group_size: 1
    .uses_dynamic_stack: false
    .vgpr_count:     18
    .vgpr_spill_count: 0
    .wavefront_size: 64
  - .args:
      - .offset:         0
        .size:           4
        .value_kind:     by_value
      - .actual_access:  read_only
        .address_space:  global
        .offset:         8
        .size:           8
        .value_kind:     global_buffer
      - .actual_access:  read_only
        .address_space:  global
        .offset:         16
        .size:           8
        .value_kind:     global_buffer
      - .address_space:  global
        .offset:         24
        .size:           8
        .value_kind:     global_buffer
      - .address_space:  global
        .offset:         32
        .size:           8
        .value_kind:     global_buffer
      - .address_space:  global
        .offset:         40
        .size:           8
        .value_kind:     global_buffer
      - .address_space:  global
        .offset:         48
        .size:           8
        .value_kind:     global_buffer
      - .offset:         56
        .size:           4
        .value_kind:     by_value
      - .offset:         60
        .size:           4
        .value_kind:     by_value
    .group_segment_fixed_size: 64
    .kernarg_segment_align: 8
    .kernarg_segment_size: 64
    .language:       OpenCL C
    .language_version:
      - 2
      - 0
    .max_flat_workgroup_size: 1024
    .name:           _ZN9rocsparseL27csrsv_analysis_lower_kernelILj1024ELj64ELb0EliEEvT3_PKT2_PKS1_PS2_PiS7_PS1_21rocsparse_index_base_20rocsparse_diag_type_
    .private_segment_fixed_size: 0
    .sgpr_count:     33
    .sgpr_spill_count: 0
    .symbol:         _ZN9rocsparseL27csrsv_analysis_lower_kernelILj1024ELj64ELb0EliEEvT3_PKT2_PKS1_PS2_PiS7_PS1_21rocsparse_index_base_20rocsparse_diag_type_.kd
    .uniform_work_group_size: 1
    .uses_dynamic_stack: false
    .vgpr_count:     18
    .vgpr_spill_count: 0
    .wavefront_size: 64
  - .args:
      - .offset:         0
        .size:           8
        .value_kind:     by_value
      - .actual_access:  read_only
        .address_space:  global
        .offset:         8
        .size:           8
        .value_kind:     global_buffer
      - .actual_access:  read_only
        .address_space:  global
        .offset:         16
        .size:           8
        .value_kind:     global_buffer
      - .address_space:  global
        .offset:         24
        .size:           8
        .value_kind:     global_buffer
      - .address_space:  global
        .offset:         32
        .size:           8
        .value_kind:     global_buffer
      - .address_space:  global
        .offset:         40
        .size:           8
        .value_kind:     global_buffer
      - .address_space:  global
        .offset:         48
        .size:           8
        .value_kind:     global_buffer
      - .offset:         56
        .size:           4
        .value_kind:     by_value
      - .offset:         60
        .size:           4
        .value_kind:     by_value
    .group_segment_fixed_size: 64
    .kernarg_segment_align: 8
    .kernarg_segment_size: 64
    .language:       OpenCL C
    .language_version:
      - 2
      - 0
    .max_flat_workgroup_size: 1024
    .name:           _ZN9rocsparseL27csrsv_analysis_upper_kernelILj1024ELj64ELb1EllEEvT3_PKT2_PKS1_PS2_PiS7_PS1_21rocsparse_index_base_20rocsparse_diag_type_
    .private_segment_fixed_size: 0
    .sgpr_count:     42
    .sgpr_spill_count: 0
    .symbol:         _ZN9rocsparseL27csrsv_analysis_upper_kernelILj1024ELj64ELb1EllEEvT3_PKT2_PKS1_PS2_PiS7_PS1_21rocsparse_index_base_20rocsparse_diag_type_.kd
    .uniform_work_group_size: 1
    .uses_dynamic_stack: false
    .vgpr_count:     19
    .vgpr_spill_count: 0
    .wavefront_size: 64
  - .args:
      - .offset:         0
        .size:           8
        .value_kind:     by_value
      - .actual_access:  read_only
        .address_space:  global
        .offset:         8
        .size:           8
        .value_kind:     global_buffer
      - .actual_access:  read_only
        .address_space:  global
        .offset:         16
        .size:           8
        .value_kind:     global_buffer
      - .address_space:  global
        .offset:         24
        .size:           8
        .value_kind:     global_buffer
      - .address_space:  global
        .offset:         32
        .size:           8
        .value_kind:     global_buffer
      - .address_space:  global
        .offset:         40
        .size:           8
        .value_kind:     global_buffer
      - .address_space:  global
        .offset:         48
        .size:           8
        .value_kind:     global_buffer
      - .offset:         56
        .size:           4
        .value_kind:     by_value
      - .offset:         60
        .size:           4
        .value_kind:     by_value
    .group_segment_fixed_size: 64
    .kernarg_segment_align: 8
    .kernarg_segment_size: 64
    .language:       OpenCL C
    .language_version:
      - 2
      - 0
    .max_flat_workgroup_size: 1024
    .name:           _ZN9rocsparseL27csrsv_analysis_lower_kernelILj1024ELj64ELb1EllEEvT3_PKT2_PKS1_PS2_PiS7_PS1_21rocsparse_index_base_20rocsparse_diag_type_
    .private_segment_fixed_size: 0
    .sgpr_count:     36
    .sgpr_spill_count: 0
    .symbol:         _ZN9rocsparseL27csrsv_analysis_lower_kernelILj1024ELj64ELb1EllEEvT3_PKT2_PKS1_PS2_PiS7_PS1_21rocsparse_index_base_20rocsparse_diag_type_.kd
    .uniform_work_group_size: 1
    .uses_dynamic_stack: false
    .vgpr_count:     19
    .vgpr_spill_count: 0
    .wavefront_size: 64
  - .args:
      - .offset:         0
        .size:           8
        .value_kind:     by_value
      - .actual_access:  read_only
        .address_space:  global
        .offset:         8
        .size:           8
        .value_kind:     global_buffer
      - .actual_access:  read_only
        .address_space:  global
        .offset:         16
        .size:           8
        .value_kind:     global_buffer
      - .address_space:  global
        .offset:         24
        .size:           8
        .value_kind:     global_buffer
      - .address_space:  global
        .offset:         32
        .size:           8
        .value_kind:     global_buffer
      - .address_space:  global
        .offset:         40
        .size:           8
        .value_kind:     global_buffer
      - .address_space:  global
        .offset:         48
        .size:           8
        .value_kind:     global_buffer
      - .offset:         56
        .size:           4
        .value_kind:     by_value
      - .offset:         60
        .size:           4
        .value_kind:     by_value
    .group_segment_fixed_size: 128
    .kernarg_segment_align: 8
    .kernarg_segment_size: 64
    .language:       OpenCL C
    .language_version:
      - 2
      - 0
    .max_flat_workgroup_size: 1024
    .name:           _ZN9rocsparseL27csrsv_analysis_upper_kernelILj1024ELj32ELb0EllEEvT3_PKT2_PKS1_PS2_PiS7_PS1_21rocsparse_index_base_20rocsparse_diag_type_
    .private_segment_fixed_size: 0
    .sgpr_count:     40
    .sgpr_spill_count: 0
    .symbol:         _ZN9rocsparseL27csrsv_analysis_upper_kernelILj1024ELj32ELb0EllEEvT3_PKT2_PKS1_PS2_PiS7_PS1_21rocsparse_index_base_20rocsparse_diag_type_.kd
    .uniform_work_group_size: 1
    .uses_dynamic_stack: false
    .vgpr_count:     19
    .vgpr_spill_count: 0
    .wavefront_size: 64
  - .args:
      - .offset:         0
        .size:           8
        .value_kind:     by_value
      - .actual_access:  read_only
        .address_space:  global
        .offset:         8
        .size:           8
        .value_kind:     global_buffer
      - .actual_access:  read_only
        .address_space:  global
        .offset:         16
        .size:           8
        .value_kind:     global_buffer
      - .address_space:  global
        .offset:         24
        .size:           8
        .value_kind:     global_buffer
      - .address_space:  global
        .offset:         32
        .size:           8
        .value_kind:     global_buffer
      - .address_space:  global
        .offset:         40
        .size:           8
        .value_kind:     global_buffer
      - .address_space:  global
        .offset:         48
        .size:           8
        .value_kind:     global_buffer
      - .offset:         56
        .size:           4
        .value_kind:     by_value
      - .offset:         60
        .size:           4
        .value_kind:     by_value
    .group_segment_fixed_size: 128
    .kernarg_segment_align: 8
    .kernarg_segment_size: 64
    .language:       OpenCL C
    .language_version:
      - 2
      - 0
    .max_flat_workgroup_size: 1024
    .name:           _ZN9rocsparseL27csrsv_analysis_lower_kernelILj1024ELj32ELb0EllEEvT3_PKT2_PKS1_PS2_PiS7_PS1_21rocsparse_index_base_20rocsparse_diag_type_
    .private_segment_fixed_size: 0
    .sgpr_count:     34
    .sgpr_spill_count: 0
    .symbol:         _ZN9rocsparseL27csrsv_analysis_lower_kernelILj1024ELj32ELb0EllEEvT3_PKT2_PKS1_PS2_PiS7_PS1_21rocsparse_index_base_20rocsparse_diag_type_.kd
    .uniform_work_group_size: 1
    .uses_dynamic_stack: false
    .vgpr_count:     19
    .vgpr_spill_count: 0
    .wavefront_size: 64
  - .args:
      - .offset:         0
        .size:           8
        .value_kind:     by_value
      - .actual_access:  read_only
        .address_space:  global
        .offset:         8
        .size:           8
        .value_kind:     global_buffer
      - .actual_access:  read_only
        .address_space:  global
        .offset:         16
        .size:           8
        .value_kind:     global_buffer
      - .address_space:  global
        .offset:         24
        .size:           8
        .value_kind:     global_buffer
      - .address_space:  global
        .offset:         32
        .size:           8
        .value_kind:     global_buffer
      - .address_space:  global
        .offset:         40
        .size:           8
        .value_kind:     global_buffer
      - .address_space:  global
        .offset:         48
        .size:           8
        .value_kind:     global_buffer
      - .offset:         56
        .size:           4
        .value_kind:     by_value
      - .offset:         60
        .size:           4
        .value_kind:     by_value
    .group_segment_fixed_size: 64
    .kernarg_segment_align: 8
    .kernarg_segment_size: 64
    .language:       OpenCL C
    .language_version:
      - 2
      - 0
    .max_flat_workgroup_size: 1024
    .name:           _ZN9rocsparseL27csrsv_analysis_upper_kernelILj1024ELj64ELb0EllEEvT3_PKT2_PKS1_PS2_PiS7_PS1_21rocsparse_index_base_20rocsparse_diag_type_
    .private_segment_fixed_size: 0
    .sgpr_count:     40
    .sgpr_spill_count: 0
    .symbol:         _ZN9rocsparseL27csrsv_analysis_upper_kernelILj1024ELj64ELb0EllEEvT3_PKT2_PKS1_PS2_PiS7_PS1_21rocsparse_index_base_20rocsparse_diag_type_.kd
    .uniform_work_group_size: 1
    .uses_dynamic_stack: false
    .vgpr_count:     19
    .vgpr_spill_count: 0
    .wavefront_size: 64
  - .args:
      - .offset:         0
        .size:           8
        .value_kind:     by_value
      - .actual_access:  read_only
        .address_space:  global
        .offset:         8
        .size:           8
        .value_kind:     global_buffer
      - .actual_access:  read_only
        .address_space:  global
        .offset:         16
        .size:           8
        .value_kind:     global_buffer
      - .address_space:  global
        .offset:         24
        .size:           8
        .value_kind:     global_buffer
      - .address_space:  global
        .offset:         32
        .size:           8
        .value_kind:     global_buffer
      - .address_space:  global
        .offset:         40
        .size:           8
        .value_kind:     global_buffer
      - .address_space:  global
        .offset:         48
        .size:           8
        .value_kind:     global_buffer
      - .offset:         56
        .size:           4
        .value_kind:     by_value
      - .offset:         60
        .size:           4
        .value_kind:     by_value
    .group_segment_fixed_size: 64
    .kernarg_segment_align: 8
    .kernarg_segment_size: 64
    .language:       OpenCL C
    .language_version:
      - 2
      - 0
    .max_flat_workgroup_size: 1024
    .name:           _ZN9rocsparseL27csrsv_analysis_lower_kernelILj1024ELj64ELb0EllEEvT3_PKT2_PKS1_PS2_PiS7_PS1_21rocsparse_index_base_20rocsparse_diag_type_
    .private_segment_fixed_size: 0
    .sgpr_count:     34
    .sgpr_spill_count: 0
    .symbol:         _ZN9rocsparseL27csrsv_analysis_lower_kernelILj1024ELj64ELb0EllEEvT3_PKT2_PKS1_PS2_PiS7_PS1_21rocsparse_index_base_20rocsparse_diag_type_.kd
    .uniform_work_group_size: 1
    .uses_dynamic_stack: false
    .vgpr_count:     19
    .vgpr_spill_count: 0
    .wavefront_size: 64
  - .args:
      - .offset:         0
        .size:           8
        .value_kind:     by_value
      - .actual_access:  read_only
        .address_space:  global
        .offset:         8
        .size:           8
        .value_kind:     global_buffer
      - .actual_access:  read_only
        .address_space:  global
        .offset:         16
        .size:           8
        .value_kind:     global_buffer
      - .address_space:  global
        .offset:         24
        .size:           8
        .value_kind:     global_buffer
      - .address_space:  global
        .offset:         32
        .size:           8
        .value_kind:     global_buffer
      - .address_space:  global
        .offset:         40
        .size:           8
        .value_kind:     global_buffer
      - .address_space:  global
        .offset:         48
        .size:           8
        .value_kind:     global_buffer
      - .offset:         56
        .size:           4
        .value_kind:     by_value
      - .offset:         60
        .size:           4
        .value_kind:     by_value
    .group_segment_fixed_size: 64
    .kernarg_segment_align: 8
    .kernarg_segment_size: 64
    .language:       OpenCL C
    .language_version:
      - 2
      - 0
    .max_flat_workgroup_size: 1024
    .name:           _ZN9rocsparseL27csrsv_analysis_upper_kernelILj1024ELj64ELb1EilEEvT3_PKT2_PKS1_PS2_PiS7_PS1_21rocsparse_index_base_20rocsparse_diag_type_
    .private_segment_fixed_size: 0
    .sgpr_count:     42
    .sgpr_spill_count: 0
    .symbol:         _ZN9rocsparseL27csrsv_analysis_upper_kernelILj1024ELj64ELb1EilEEvT3_PKT2_PKS1_PS2_PiS7_PS1_21rocsparse_index_base_20rocsparse_diag_type_.kd
    .uniform_work_group_size: 1
    .uses_dynamic_stack: false
    .vgpr_count:     16
    .vgpr_spill_count: 0
    .wavefront_size: 64
  - .args:
      - .offset:         0
        .size:           8
        .value_kind:     by_value
      - .actual_access:  read_only
        .address_space:  global
        .offset:         8
        .size:           8
        .value_kind:     global_buffer
      - .actual_access:  read_only
        .address_space:  global
        .offset:         16
        .size:           8
        .value_kind:     global_buffer
      - .address_space:  global
        .offset:         24
        .size:           8
        .value_kind:     global_buffer
      - .address_space:  global
        .offset:         32
        .size:           8
        .value_kind:     global_buffer
      - .address_space:  global
        .offset:         40
        .size:           8
        .value_kind:     global_buffer
      - .address_space:  global
        .offset:         48
        .size:           8
        .value_kind:     global_buffer
      - .offset:         56
        .size:           4
        .value_kind:     by_value
      - .offset:         60
        .size:           4
        .value_kind:     by_value
    .group_segment_fixed_size: 64
    .kernarg_segment_align: 8
    .kernarg_segment_size: 64
    .language:       OpenCL C
    .language_version:
      - 2
      - 0
    .max_flat_workgroup_size: 1024
    .name:           _ZN9rocsparseL27csrsv_analysis_lower_kernelILj1024ELj64ELb1EilEEvT3_PKT2_PKS1_PS2_PiS7_PS1_21rocsparse_index_base_20rocsparse_diag_type_
    .private_segment_fixed_size: 0
    .sgpr_count:     36
    .sgpr_spill_count: 0
    .symbol:         _ZN9rocsparseL27csrsv_analysis_lower_kernelILj1024ELj64ELb1EilEEvT3_PKT2_PKS1_PS2_PiS7_PS1_21rocsparse_index_base_20rocsparse_diag_type_.kd
    .uniform_work_group_size: 1
    .uses_dynamic_stack: false
    .vgpr_count:     16
    .vgpr_spill_count: 0
    .wavefront_size: 64
  - .args:
      - .offset:         0
        .size:           8
        .value_kind:     by_value
      - .actual_access:  read_only
        .address_space:  global
        .offset:         8
        .size:           8
        .value_kind:     global_buffer
      - .actual_access:  read_only
        .address_space:  global
        .offset:         16
        .size:           8
        .value_kind:     global_buffer
      - .address_space:  global
        .offset:         24
        .size:           8
        .value_kind:     global_buffer
      - .address_space:  global
        .offset:         32
        .size:           8
        .value_kind:     global_buffer
      - .address_space:  global
        .offset:         40
        .size:           8
        .value_kind:     global_buffer
      - .address_space:  global
        .offset:         48
        .size:           8
        .value_kind:     global_buffer
      - .offset:         56
        .size:           4
        .value_kind:     by_value
      - .offset:         60
        .size:           4
        .value_kind:     by_value
    .group_segment_fixed_size: 128
    .kernarg_segment_align: 8
    .kernarg_segment_size: 64
    .language:       OpenCL C
    .language_version:
      - 2
      - 0
    .max_flat_workgroup_size: 1024
    .name:           _ZN9rocsparseL27csrsv_analysis_upper_kernelILj1024ELj32ELb0EilEEvT3_PKT2_PKS1_PS2_PiS7_PS1_21rocsparse_index_base_20rocsparse_diag_type_
    .private_segment_fixed_size: 0
    .sgpr_count:     40
    .sgpr_spill_count: 0
    .symbol:         _ZN9rocsparseL27csrsv_analysis_upper_kernelILj1024ELj32ELb0EilEEvT3_PKT2_PKS1_PS2_PiS7_PS1_21rocsparse_index_base_20rocsparse_diag_type_.kd
    .uniform_work_group_size: 1
    .uses_dynamic_stack: false
    .vgpr_count:     16
    .vgpr_spill_count: 0
    .wavefront_size: 64
  - .args:
      - .offset:         0
        .size:           8
        .value_kind:     by_value
      - .actual_access:  read_only
        .address_space:  global
        .offset:         8
        .size:           8
        .value_kind:     global_buffer
      - .actual_access:  read_only
        .address_space:  global
        .offset:         16
        .size:           8
        .value_kind:     global_buffer
      - .address_space:  global
        .offset:         24
        .size:           8
        .value_kind:     global_buffer
      - .address_space:  global
        .offset:         32
        .size:           8
        .value_kind:     global_buffer
      - .address_space:  global
        .offset:         40
        .size:           8
        .value_kind:     global_buffer
      - .address_space:  global
        .offset:         48
        .size:           8
        .value_kind:     global_buffer
      - .offset:         56
        .size:           4
        .value_kind:     by_value
      - .offset:         60
        .size:           4
        .value_kind:     by_value
    .group_segment_fixed_size: 128
    .kernarg_segment_align: 8
    .kernarg_segment_size: 64
    .language:       OpenCL C
    .language_version:
      - 2
      - 0
    .max_flat_workgroup_size: 1024
    .name:           _ZN9rocsparseL27csrsv_analysis_lower_kernelILj1024ELj32ELb0EilEEvT3_PKT2_PKS1_PS2_PiS7_PS1_21rocsparse_index_base_20rocsparse_diag_type_
    .private_segment_fixed_size: 0
    .sgpr_count:     34
    .sgpr_spill_count: 0
    .symbol:         _ZN9rocsparseL27csrsv_analysis_lower_kernelILj1024ELj32ELb0EilEEvT3_PKT2_PKS1_PS2_PiS7_PS1_21rocsparse_index_base_20rocsparse_diag_type_.kd
    .uniform_work_group_size: 1
    .uses_dynamic_stack: false
    .vgpr_count:     16
    .vgpr_spill_count: 0
    .wavefront_size: 64
  - .args:
      - .offset:         0
        .size:           8
        .value_kind:     by_value
      - .actual_access:  read_only
        .address_space:  global
        .offset:         8
        .size:           8
        .value_kind:     global_buffer
      - .actual_access:  read_only
        .address_space:  global
        .offset:         16
        .size:           8
        .value_kind:     global_buffer
      - .address_space:  global
        .offset:         24
        .size:           8
        .value_kind:     global_buffer
      - .address_space:  global
        .offset:         32
        .size:           8
        .value_kind:     global_buffer
      - .address_space:  global
        .offset:         40
        .size:           8
        .value_kind:     global_buffer
      - .address_space:  global
        .offset:         48
        .size:           8
        .value_kind:     global_buffer
      - .offset:         56
        .size:           4
        .value_kind:     by_value
      - .offset:         60
        .size:           4
        .value_kind:     by_value
    .group_segment_fixed_size: 64
    .kernarg_segment_align: 8
    .kernarg_segment_size: 64
    .language:       OpenCL C
    .language_version:
      - 2
      - 0
    .max_flat_workgroup_size: 1024
    .name:           _ZN9rocsparseL27csrsv_analysis_upper_kernelILj1024ELj64ELb0EilEEvT3_PKT2_PKS1_PS2_PiS7_PS1_21rocsparse_index_base_20rocsparse_diag_type_
    .private_segment_fixed_size: 0
    .sgpr_count:     40
    .sgpr_spill_count: 0
    .symbol:         _ZN9rocsparseL27csrsv_analysis_upper_kernelILj1024ELj64ELb0EilEEvT3_PKT2_PKS1_PS2_PiS7_PS1_21rocsparse_index_base_20rocsparse_diag_type_.kd
    .uniform_work_group_size: 1
    .uses_dynamic_stack: false
    .vgpr_count:     16
    .vgpr_spill_count: 0
    .wavefront_size: 64
  - .args:
      - .offset:         0
        .size:           8
        .value_kind:     by_value
      - .actual_access:  read_only
        .address_space:  global
        .offset:         8
        .size:           8
        .value_kind:     global_buffer
      - .actual_access:  read_only
        .address_space:  global
        .offset:         16
        .size:           8
        .value_kind:     global_buffer
      - .address_space:  global
        .offset:         24
        .size:           8
        .value_kind:     global_buffer
      - .address_space:  global
        .offset:         32
        .size:           8
        .value_kind:     global_buffer
      - .address_space:  global
        .offset:         40
        .size:           8
        .value_kind:     global_buffer
      - .address_space:  global
        .offset:         48
        .size:           8
        .value_kind:     global_buffer
      - .offset:         56
        .size:           4
        .value_kind:     by_value
      - .offset:         60
        .size:           4
        .value_kind:     by_value
    .group_segment_fixed_size: 64
    .kernarg_segment_align: 8
    .kernarg_segment_size: 64
    .language:       OpenCL C
    .language_version:
      - 2
      - 0
    .max_flat_workgroup_size: 1024
    .name:           _ZN9rocsparseL27csrsv_analysis_lower_kernelILj1024ELj64ELb0EilEEvT3_PKT2_PKS1_PS2_PiS7_PS1_21rocsparse_index_base_20rocsparse_diag_type_
    .private_segment_fixed_size: 0
    .sgpr_count:     34
    .sgpr_spill_count: 0
    .symbol:         _ZN9rocsparseL27csrsv_analysis_lower_kernelILj1024ELj64ELb0EilEEvT3_PKT2_PKS1_PS2_PiS7_PS1_21rocsparse_index_base_20rocsparse_diag_type_.kd
    .uniform_work_group_size: 1
    .uses_dynamic_stack: false
    .vgpr_count:     16
    .vgpr_spill_count: 0
    .wavefront_size: 64
amdhsa.target:   amdgcn-amd-amdhsa--gfx906
amdhsa.version:
  - 1
  - 2
...

	.end_amdgpu_metadata
